;; amdgpu-corpus repo=vllm-project/vllm kind=compiled arch=gfx1100 opt=O3
	.text
	.amdgcn_target "amdgcn-amd-amdhsa--gfx1100"
	.amdhsa_code_object_version 6
	.section	.text._ZN4vllm14moe_gptq_rdna324moe_gemm_q4_kernel_rdna3I6__halfLi1EEEvPKT_PS3_PKjS5_S8_PKfPKiSC_SC_iiiiiiiibi,"axG",@progbits,_ZN4vllm14moe_gptq_rdna324moe_gemm_q4_kernel_rdna3I6__halfLi1EEEvPKT_PS3_PKjS5_S8_PKfPKiSC_SC_iiiiiiiibi,comdat
	.protected	_ZN4vllm14moe_gptq_rdna324moe_gemm_q4_kernel_rdna3I6__halfLi1EEEvPKT_PS3_PKjS5_S8_PKfPKiSC_SC_iiiiiiiibi ; -- Begin function _ZN4vllm14moe_gptq_rdna324moe_gemm_q4_kernel_rdna3I6__halfLi1EEEvPKT_PS3_PKjS5_S8_PKfPKiSC_SC_iiiiiiiibi
	.globl	_ZN4vllm14moe_gptq_rdna324moe_gemm_q4_kernel_rdna3I6__halfLi1EEEvPKT_PS3_PKjS5_S8_PKfPKiSC_SC_iiiiiiiibi
	.p2align	8
	.type	_ZN4vllm14moe_gptq_rdna324moe_gemm_q4_kernel_rdna3I6__halfLi1EEEvPKT_PS3_PKjS5_S8_PKfPKiSC_SC_iiiiiiiibi,@function
_ZN4vllm14moe_gptq_rdna324moe_gemm_q4_kernel_rdna3I6__halfLi1EEEvPKT_PS3_PKjS5_S8_PKfPKiSC_SC_iiiiiiiibi: ; @_ZN4vllm14moe_gptq_rdna324moe_gemm_q4_kernel_rdna3I6__halfLi1EEEvPKT_PS3_PKjS5_S8_PKfPKiSC_SC_iiiiiiiibi
; %bb.0:
	s_load_b64 s[4:5], s[0:1], 0x40
	s_waitcnt lgkmcnt(0)
	s_load_b32 s3, s[4:5], 0x0
	s_waitcnt lgkmcnt(0)
	s_cmp_ge_i32 s13, s3
	s_cbranch_scc1 .LBB0_19
; %bb.1:
	s_load_b64 s[4:5], s[0:1], 0x38
	s_mov_b32 s2, s13
	s_ashr_i32 s3, s13, 31
	s_delay_alu instid0(SALU_CYCLE_1)
	s_lshl_b64 s[12:13], s[2:3], 2
	s_waitcnt lgkmcnt(0)
	s_add_u32 s2, s4, s12
	s_addc_u32 s3, s5, s13
	s_load_b32 s30, s[2:3], 0x0
	s_waitcnt lgkmcnt(0)
	s_cmp_eq_u32 s30, -1
	s_cbranch_scc1 .LBB0_19
; %bb.2:
	s_clause 0x3
	s_load_b256 s[16:23], s[0:1], 0x48
	s_load_b256 s[4:11], s[0:1], 0x8
	s_load_b128 s[24:27], s[0:1], 0x28
	s_load_b64 s[2:3], s[0:1], 0x68
	s_lshl_b32 s28, s15, 8
	s_mov_b32 s31, exec_lo
	v_add_nc_u32_e32 v1, s28, v0
	s_add_i32 s15, s28, 0x100
	s_waitcnt lgkmcnt(0)
	s_min_i32 s15, s15, s18
	s_delay_alu instid0(VALU_DEP_1) | instid1(SALU_CYCLE_1)
	v_cmpx_gt_i32_e64 s15, v1
	s_cbranch_execz .LBB0_6
; %bb.3:
	s_add_u32 s34, s26, s12
	s_addc_u32 s35, s27, s13
	s_abs_i32 s29, s20
	s_load_b32 s33, s[34:35], 0x0
	v_cvt_f32_u32_e32 v1, s29
	s_sub_i32 s35, 0, s29
	v_mov_b32_e32 v2, 0
	s_delay_alu instid0(VALU_DEP_2) | instskip(SKIP_4) | instid1(VALU_DEP_1)
	v_rcp_iflag_f32_e32 v1, v1
	s_waitcnt_depctr 0xfff
	v_mul_f32_e32 v1, 0x4f7ffffe, v1
	s_waitcnt lgkmcnt(0)
	s_abs_i32 s36, s33
	v_cvt_u32_f32_e32 v1, v1
	s_xor_b32 s33, s33, s20
	s_delay_alu instid0(SALU_CYCLE_1) | instskip(NEXT) | instid1(VALU_DEP_1)
	s_ashr_i32 s33, s33, 31
	v_readfirstlane_b32 s34, v1
	v_lshlrev_b32_e32 v1, 1, v0
	s_delay_alu instid0(VALU_DEP_2) | instskip(NEXT) | instid1(SALU_CYCLE_1)
	s_mul_i32 s35, s35, s34
	s_mul_hi_u32 s35, s34, s35
	s_delay_alu instid0(SALU_CYCLE_1) | instskip(NEXT) | instid1(SALU_CYCLE_1)
	s_add_i32 s34, s34, s35
	s_mul_hi_u32 s34, s36, s34
	s_delay_alu instid0(SALU_CYCLE_1) | instskip(NEXT) | instid1(SALU_CYCLE_1)
	s_mul_i32 s35, s34, s29
	s_sub_i32 s35, s36, s35
	s_add_i32 s36, s34, 1
	s_sub_i32 s37, s35, s29
	s_cmp_ge_u32 s35, s29
	s_cselect_b32 s34, s36, s34
	s_cselect_b32 s35, s37, s35
	s_add_i32 s36, s34, 1
	s_cmp_ge_u32 s35, s29
	s_cselect_b32 s29, s36, s34
	s_delay_alu instid0(SALU_CYCLE_1) | instskip(NEXT) | instid1(SALU_CYCLE_1)
	s_xor_b32 s29, s29, s33
	s_sub_i32 s29, s29, s33
	s_delay_alu instid0(SALU_CYCLE_1)
	s_cmp_ge_i32 s29, s16
	s_cbranch_scc1 .LBB0_5
; %bb.4:
	s_load_b64 s[0:1], s[0:1], 0x0
	s_mul_hi_i32 s35, s29, s18
	s_mul_i32 s34, s29, s18
	s_ashr_i32 s29, s28, 31
	s_lshl_b64 s[34:35], s[34:35], 1
	s_waitcnt lgkmcnt(0)
	s_add_u32 s33, s0, s34
	s_addc_u32 s34, s1, s35
	s_lshl_b64 s[0:1], s[28:29], 1
	s_delay_alu instid0(SALU_CYCLE_1)
	s_add_u32 s0, s33, s0
	s_addc_u32 s1, s34, s1
	global_load_u16 v2, v1, s[0:1]
.LBB0_5:
	s_waitcnt vmcnt(0)
	ds_store_b16 v1, v2
.LBB0_6:
	s_or_b32 exec_lo, exec_lo, s31
	v_lshlrev_b32_e32 v1, 2, v0
	s_waitcnt lgkmcnt(0)
	s_barrier
	buffer_gl0_inv
	s_mov_b32 s0, exec_lo
	v_lshl_add_u32 v1, s14, 10, v1
	s_delay_alu instid0(VALU_DEP_1)
	v_cmpx_gt_i32_e64 s17, v1
	s_cbranch_execz .LBB0_19
; %bb.7:
	s_abs_i32 s0, s19
	v_dual_mov_b32 v23, 0 :: v_dual_mov_b32 v22, 0
	v_cvt_f32_u32_e32 v2, s0
	v_mov_b32_e32 v21, 0
	s_cmp_ge_i32 s28, s18
	s_mov_b32 s14, 0
	v_mov_b32_e32 v20, 0
	v_rcp_iflag_f32_e32 v2, v2
	s_waitcnt_depctr 0xfff
	v_mul_f32_e32 v3, 0x4f7ffffe, v2
	v_ashrrev_i32_e32 v2, 31, v1
	s_delay_alu instid0(VALU_DEP_2) | instskip(NEXT) | instid1(VALU_DEP_2)
	v_cvt_u32_f32_e32 v3, v3
	v_lshlrev_b64 v[16:17], 1, v[1:2]
	s_delay_alu instid0(VALU_DEP_2)
	v_readfirstlane_b32 s1, v3
	s_cbranch_scc1 .LBB0_12
; %bb.8:
	s_ashr_i32 s31, s19, 31
	s_sub_i32 s19, 0, s0
	s_ashr_i32 s29, s18, 31
	s_mul_i32 s34, s19, s1
	s_abs_i32 s33, s18
	s_mul_hi_i32 s19, s30, s22
	s_mul_i32 s18, s30, s22
	s_mul_hi_u32 s22, s1, s34
	s_lshl_b64 s[18:19], s[18:19], 1
	s_add_i32 s1, s1, s22
	s_mul_hi_i32 s35, s30, s23
	s_mul_i32 s34, s30, s23
	s_add_u32 s36, s8, s18
	s_addc_u32 s19, s9, s19
	s_lshl_b64 s[8:9], s[34:35], 2
	s_mul_hi_u32 s1, s33, s1
	s_add_u32 s34, s10, s8
	s_mul_i32 s8, s1, s0
	s_addc_u32 s35, s11, s9
	s_sub_i32 s8, s33, s8
	s_xor_b32 s9, s29, s31
	s_add_i32 s10, s1, 1
	s_sub_i32 s11, s8, s0
	s_cmp_ge_u32 s8, s0
	v_lshrrev_b32_e32 v4, 29, v2
	s_cselect_b32 s1, s10, s1
	s_cselect_b32 s8, s11, s8
	s_add_i32 s10, s1, 1
	s_cmp_ge_u32 s8, s0
	v_dual_mov_b32 v21, 0 :: v_dual_mov_b32 v22, 0
	s_cselect_b32 s0, s10, s1
	s_abs_i32 s18, s28
	s_xor_b32 s0, s0, s9
	v_mov_b32_e32 v20, 0
	s_sub_i32 s10, s0, s9
	s_ashr_i32 s9, s17, 31
	s_abs_i32 s0, s10
	s_lshr_b32 s11, s9, 29
	v_cvt_f32_u32_e32 v3, s0
	s_sub_i32 s8, 0, s0
	s_add_i32 s11, s17, s11
	v_mov_b32_e32 v23, 0
	s_ashr_i32 s11, s11, 3
	v_rcp_iflag_f32_e32 v3, v3
	s_waitcnt_depctr 0xfff
	v_mul_f32_e32 v3, 0x4f7ffffe, v3
	s_delay_alu instid0(VALU_DEP_1) | instskip(NEXT) | instid1(VALU_DEP_1)
	v_cvt_u32_f32_e32 v3, v3
	v_readfirstlane_b32 s1, v3
	v_add_nc_u32_e32 v3, v1, v4
	s_delay_alu instid0(VALU_DEP_2) | instskip(NEXT) | instid1(VALU_DEP_1)
	s_mul_i32 s8, s8, s1
	v_ashrrev_i32_e32 v3, 3, v3
	s_mul_hi_u32 s8, s1, s8
	s_delay_alu instid0(SALU_CYCLE_1)
	s_add_i32 s1, s1, s8
	s_xor_b32 s8, s28, s10
	s_mul_hi_u32 s1, s18, s1
	s_ashr_i32 s8, s8, 31
	s_mul_i32 s22, s1, s0
	v_ashrrev_i32_e32 v4, 31, v3
	s_sub_i32 s18, s18, s22
	s_add_i32 s22, s1, 1
	s_sub_i32 s23, s18, s0
	s_cmp_ge_u32 s18, s0
	v_lshlrev_b64 v[3:4], 2, v[3:4]
	s_cselect_b32 s1, s22, s1
	s_cselect_b32 s18, s23, s18
	s_add_i32 s22, s1, 1
	s_cmp_ge_u32 s18, s0
	s_cselect_b32 s0, s22, s1
	s_delay_alu instid0(SALU_CYCLE_1) | instskip(NEXT) | instid1(SALU_CYCLE_1)
	s_xor_b32 s0, s0, s8
	s_sub_i32 s18, s0, s8
	s_mov_b32 s8, s17
	s_mul_i32 s0, s18, s17
	s_mul_i32 s22, s18, s11
	s_ashr_i32 s1, s0, 31
	s_delay_alu instid0(SALU_CYCLE_1) | instskip(NEXT) | instid1(SALU_CYCLE_1)
	s_lshl_b64 s[0:1], s[0:1], 1
	s_add_u32 s0, s36, s0
	s_addc_u32 s1, s19, s1
	s_ashr_i32 s23, s22, 31
	v_add_co_u32 v5, vcc_lo, s0, v16
	v_add_co_ci_u32_e32 v6, vcc_lo, s1, v17, vcc_lo
	s_lshl_b64 s[0:1], s[22:23], 2
	s_mul_hi_i32 s23, s30, s21
	s_add_u32 s0, s34, s0
	s_addc_u32 s1, s35, s1
	v_add_co_u32 v7, vcc_lo, s0, v3
	v_add_co_ci_u32_e32 v8, vcc_lo, s1, v4, vcc_lo
	global_load_b64 v[5:6], v[5:6], off
	v_add_co_u32 v25, vcc_lo, s36, v16
	global_load_b32 v7, v[7:8], off
	v_lshlrev_b32_e32 v8, 4, v0
	v_lshlrev_b64 v[0:1], 2, v[1:2]
	v_add_co_ci_u32_e32 v26, vcc_lo, s19, v17, vcc_lo
	v_add_co_u32 v27, vcc_lo, s34, v3
	s_delay_alu instid0(VALU_DEP_4)
	v_and_b32_e32 v24, 16, v8
	v_add_co_ci_u32_e32 v28, vcc_lo, s35, v4, vcc_lo
	s_ashr_i32 s0, s28, 3
	s_mul_i32 s22, s30, s21
	s_mul_i32 s30, s0, s17
	s_lshl_b64 s[22:23], s[22:23], 2
	s_ashr_i32 s31, s30, 31
	s_add_i32 s19, s18, 1
	s_lshl_b64 s[30:31], s[30:31], 2
	s_lshl_b64 s[0:1], s[8:9], 2
	s_add_u32 s21, s22, s30
	s_addc_u32 s22, s23, s31
	s_add_u32 s6, s6, s21
	s_addc_u32 s7, s7, s22
	v_add_co_u32 v18, vcc_lo, s6, v0
	v_add_co_ci_u32_e32 v19, vcc_lo, s7, v1, vcc_lo
	s_mul_i32 s19, s19, s10
	s_lshl_b64 s[6:7], s[8:9], 4
	s_mov_b32 s8, 0xf000f
	s_mov_b32 s9, 0xf000f0
	s_waitcnt vmcnt(1)
	v_alignbit_b32 v0, s0, v6, 16
	v_alignbit_b32 v1, s0, v5, 16
	v_perm_b32 v35, v6, v6, 0x7060302
	s_waitcnt vmcnt(0)
	v_lshrrev_b32_e32 v2, v8, v7
	v_bfe_u32 v3, v7, v24, 4
	v_pk_mul_f16 v36, 0x2c00, v6 op_sel:[0,1] op_sel_hi:[0,1]
	v_perm_b32 v33, v6, v6, 0x5040100
	v_pk_mul_f16 v34, 0x2c00, v6 op_sel_hi:[0,0]
	v_bfe_u32 v4, v2, 12, 4
	v_bfe_u32 v7, v2, 8, 4
	;; [unrolled: 1-line block ×3, first 2 shown]
	v_add_nc_u32_e32 v3, 1, v3
	v_perm_b32 v30, v5, v5, 0x7060302
	v_add_nc_u32_e32 v4, 1, v4
	v_add_nc_u32_e32 v7, 1, v7
	;; [unrolled: 1-line block ×3, first 2 shown]
	v_or_b32_e32 v8, 0xffffe400, v3
	v_cvt_f32_ubyte0_e32 v3, v3
	v_or_b32_e32 v9, 0xffffe400, v4
	v_or_b32_e32 v10, 0xffffe400, v7
	;; [unrolled: 1-line block ×3, first 2 shown]
	v_cvt_f32_ubyte0_e32 v4, v4
	v_cvt_f32_ubyte0_e32 v7, v7
	v_cvt_f32_ubyte0_e32 v2, v2
	v_cvt_f16_f32_e32 v3, v3
	v_pk_mul_f16 v8, v5, v8
	v_cvt_f16_f32_e32 v4, v4
	v_cvt_f16_f32_e32 v7, v7
	;; [unrolled: 1-line block ×3, first 2 shown]
	v_sub_f16_e32 v3, 0xd400, v3
	v_pk_mul_f16 v9, v0, v9
	v_sub_f16_e32 v4, 0xd400, v4
	v_sub_f16_e32 v7, 0xd400, v7
	;; [unrolled: 1-line block ×3, first 2 shown]
	v_pk_mul_f16 v10, v6, v10
	v_pk_mul_f16 v11, v1, v11
	v_pk_mul_f16 v3, v3, v5
	v_pk_mul_f16 v0, v4, v0
	v_pk_mul_f16 v4, v7, v6
	v_pk_mul_f16 v1, v2, v1
	v_pk_mul_f16 v32, 0x2c00, v5 op_sel:[0,1] op_sel_hi:[0,1]
	v_perm_b32 v29, v5, v5, 0x5040100
	v_pk_mul_f16 v31, 0x2c00, v5 op_sel_hi:[0,0]
	v_pack_b32_f16 v37, v8, v8
	v_pack_b32_f16 v39, v9, v9
	;; [unrolled: 1-line block ×8, first 2 shown]
	s_branch .LBB0_10
.LBB0_9:                                ;   in Loop: Header=BB0_10 Depth=1
	v_add_co_u32 v0, vcc_lo, v18, s0
	global_load_b128 v[12:15], v[18:19], off
	v_add_co_ci_u32_e32 v1, vcc_lo, s1, v19, vcc_lo
	v_dual_mov_b32 v56, s14 :: v_dual_mov_b32 v45, 0
	v_dual_mov_b32 v46, 0 :: v_dual_mov_b32 v47, 0
	global_load_b128 v[8:11], v[0:1], off
	v_add_co_u32 v0, vcc_lo, v0, s0
	v_add_co_ci_u32_e32 v1, vcc_lo, s1, v1, vcc_lo
	v_dual_mov_b32 v48, 0 :: v_dual_mov_b32 v49, 0
	v_dual_mov_b32 v50, 0 :: v_dual_mov_b32 v51, 0
	global_load_b128 v[4:7], v[0:1], off
	v_add_co_u32 v0, vcc_lo, v0, s0
	v_add_co_ci_u32_e32 v1, vcc_lo, s1, v1, vcc_lo
	v_dual_mov_b32 v52, 0 :: v_dual_mov_b32 v53, 0
	v_dual_mov_b32 v54, 0 :: v_dual_mov_b32 v55, 0
	global_load_b128 v[0:3], v[0:1], off
	ds_load_b128 v[62:65], v56
	ds_load_b128 v[66:69], v56 offset:16
	v_dual_mov_b32 v57, 0 :: v_dual_mov_b32 v58, 0
	v_dual_mov_b32 v59, 0 :: v_dual_mov_b32 v60, 0
	v_add_co_u32 v18, vcc_lo, v18, s6
	v_add_co_ci_u32_e32 v19, vcc_lo, s7, v19, vcc_lo
	s_add_i32 s28, s28, 32
	s_add_i32 s14, s14, 64
	s_cmp_lt_i32 s28, s15
	s_waitcnt vmcnt(3)
	v_and_or_b32 v70, v12, s8, 0x64006400
	v_and_or_b32 v72, v13, s8, 0x64006400
	v_and_or_b32 v71, v12, s9, 0x64006400
	v_lshrrev_b32_e32 v12, 8, v12
	v_and_or_b32 v73, v13, s9, 0x64006400
	v_and_or_b32 v74, v14, s8, 0x64006400
	;; [unrolled: 1-line block ×3, first 2 shown]
	v_pk_fma_f16 v70, v70, v29, v37
	v_pk_fma_f16 v72, v72, v30, v40
	v_mov_b32_e32 v61, 0
	v_lshrrev_b32_e32 v13, 8, v13
	v_and_or_b32 v75, v14, s9, 0x64006400
	v_and_or_b32 v77, v15, s9, 0x64006400
	s_waitcnt lgkmcnt(1)
	v_dot2acc_f32_f16 v46, v72, v62
	s_waitcnt vmcnt(2)
	v_and_or_b32 v78, v8, s8, 0x64006400
	v_and_or_b32 v80, v9, s8, 0x64006400
	;; [unrolled: 1-line block ×4, first 2 shown]
	v_pk_fma_f16 v71, v71, v31, v41
	v_pk_fma_f16 v74, v74, v33, v38
	;; [unrolled: 1-line block ×4, first 2 shown]
	v_and_or_b32 v86, v12, s8, 0x64006400
	v_dot2acc_f32_f16 v45, v70, v62
	v_pk_fma_f16 v75, v75, v34, v43
	v_pk_fma_f16 v77, v77, v36, v44
	v_dot2acc_f32_f16 v46, v73, v63
	v_and_or_b32 v87, v13, s8, 0x64006400
	s_waitcnt vmcnt(1)
	v_and_or_b32 v70, v4, s8, 0x64006400
	v_and_or_b32 v72, v4, s9, 0x64006400
	v_lshrrev_b32_e32 v88, 8, v4
	v_and_or_b32 v89, v5, s8, 0x64006400
	v_and_or_b32 v90, v5, s9, 0x64006400
	v_lshrrev_b32_e32 v91, 8, v5
	;; [unrolled: 3-line block ×4, first 2 shown]
	v_dual_dot2acc_f32_f16 v48, v76, v62 :: v_dual_dot2acc_f32_f16 v45, v71, v63
	v_dot2acc_f32_f16 v47, v74, v62
	v_pk_fma_f16 v4, v78, v29, v37
	v_pk_fma_f16 v62, v86, v29, v37
	s_delay_alu instid0(VALU_DEP_4)
	v_dot2acc_f32_f16 v48, v77, v63
	v_pk_fma_f16 v5, v80, v30, v40
	v_pk_fma_f16 v6, v82, v33, v38
	;; [unrolled: 1-line block ×3, first 2 shown]
	v_lshrrev_b32_e32 v14, 8, v14
	v_lshrrev_b32_e32 v15, 8, v15
	s_waitcnt lgkmcnt(0)
	v_dual_dot2acc_f32_f16 v47, v75, v63 :: v_dual_dot2acc_f32_f16 v50, v5, v66
	s_waitcnt vmcnt(0)
	v_and_or_b32 v63, v0, s8, 0x64006400
	v_and_or_b32 v71, v0, s9, 0x64006400
	v_lshrrev_b32_e32 v73, 8, v0
	v_and_or_b32 v74, v1, s8, 0x64006400
	v_and_or_b32 v75, v1, s9, 0x64006400
	v_lshrrev_b32_e32 v76, 8, v1
	;; [unrolled: 3-line block ×4, first 2 shown]
	v_dot2acc_f32_f16 v51, v6, v66
	v_dual_dot2acc_f32_f16 v52, v7, v66 :: v_dual_dot2acc_f32_f16 v45, v62, v64
	v_dot2acc_f32_f16 v49, v4, v66
	ds_load_b128 v[0:3], v56 offset:32
	ds_load_b128 v[4:7], v56 offset:48
	v_pk_fma_f16 v56, v87, v30, v40
	v_and_or_b32 v62, v14, s8, 0x64006400
	v_and_or_b32 v79, v8, s9, 0x64006400
	v_lshrrev_b32_e32 v8, 8, v8
	v_and_or_b32 v81, v9, s9, 0x64006400
	v_dot2acc_f32_f16 v46, v56, v64
	v_and_or_b32 v56, v15, s8, 0x64006400
	v_lshrrev_b32_e32 v9, 8, v9
	v_and_or_b32 v83, v10, s9, 0x64006400
	v_and_or_b32 v85, v11, s9, 0x64006400
	v_pk_fma_f16 v62, v62, v33, v38
	v_pk_fma_f16 v56, v56, v35, v39
	v_lshrrev_b32_e32 v10, 8, v10
	v_lshrrev_b32_e32 v11, 8, v11
	v_and_or_b32 v12, v12, s9, 0x64006400
	v_and_or_b32 v13, v13, s9, 0x64006400
	;; [unrolled: 1-line block ×3, first 2 shown]
	v_dot2acc_f32_f16 v47, v62, v64
	v_and_or_b32 v62, v8, s8, 0x64006400
	v_pk_fma_f16 v66, v79, v31, v41
	v_dot2acc_f32_f16 v48, v56, v64
	v_and_or_b32 v56, v9, s8, 0x64006400
	v_pk_fma_f16 v64, v81, v32, v42
	v_pk_fma_f16 v79, v83, v34, v43
	;; [unrolled: 1-line block ×5, first 2 shown]
	v_and_or_b32 v15, v15, s9, 0x64006400
	v_pk_fma_f16 v12, v12, v31, v41
	v_pk_fma_f16 v13, v13, v32, v42
	;; [unrolled: 1-line block ×3, first 2 shown]
	v_and_or_b32 v8, v8, s9, 0x64006400
	v_and_or_b32 v9, v9, s9, 0x64006400
	v_dot2acc_f32_f16 v50, v64, v67
	v_and_or_b32 v64, v11, s8, 0x64006400
	v_pk_fma_f16 v62, v62, v29, v37
	v_pk_fma_f16 v56, v56, v30, v40
	s_waitcnt lgkmcnt(1)
	v_dual_dot2acc_f32_f16 v51, v79, v67 :: v_dual_dot2acc_f32_f16 v54, v85, v0
	v_and_or_b32 v79, v88, s8, 0x64006400
	v_pk_fma_f16 v72, v72, v31, v41
	v_dot2acc_f32_f16 v52, v81, v67
	v_dot2acc_f32_f16 v49, v66, v67
	v_and_or_b32 v66, v10, s8, 0x64006400
	v_and_or_b32 v67, v91, s8, 0x64006400
	v_pk_fma_f16 v87, v90, v32, v42
	v_dual_dot2acc_f32_f16 v53, v70, v0 :: v_dual_dot2acc_f32_f16 v46, v13, v65
	v_pk_fma_f16 v89, v92, v33, v38
	v_pk_fma_f16 v92, v95, v35, v39
	;; [unrolled: 1-line block ×3, first 2 shown]
	v_and_or_b32 v10, v10, s9, 0x64006400
	v_and_or_b32 v11, v11, s9, 0x64006400
	v_pk_fma_f16 v8, v8, v31, v41
	v_pk_fma_f16 v9, v9, v32, v42
	;; [unrolled: 1-line block ×4, first 2 shown]
	v_and_or_b32 v83, v88, s9, 0x64006400
	v_and_or_b32 v81, v91, s9, 0x64006400
	;; [unrolled: 1-line block ×3, first 2 shown]
	v_pk_fma_f16 v90, v93, v34, v43
	v_and_or_b32 v85, v97, s8, 0x64006400
	v_pk_fma_f16 v93, v96, v36, v44
	v_pk_fma_f16 v79, v79, v29, v37
	;; [unrolled: 1-line block ×3, first 2 shown]
	v_dual_dot2acc_f32_f16 v55, v89, v0 :: v_dual_dot2acc_f32_f16 v48, v15, v65
	v_dual_dot2acc_f32_f16 v57, v92, v0 :: v_dual_dot2acc_f32_f16 v54, v87, v1
	v_pk_fma_f16 v63, v63, v29, v37
	v_pk_fma_f16 v74, v74, v30, v40
	v_dot2acc_f32_f16 v45, v12, v65
	v_pk_fma_f16 v77, v77, v33, v38
	v_pk_fma_f16 v82, v82, v35, v39
	s_waitcnt lgkmcnt(0)
	v_dual_dot2acc_f32_f16 v58, v63, v4 :: v_dual_dot2acc_f32_f16 v47, v14, v65
	v_dot2acc_f32_f16 v50, v56, v68
	v_dot2acc_f32_f16 v49, v62, v68
	v_dual_dot2acc_f32_f16 v53, v72, v1 :: v_dual_dot2acc_f32_f16 v60, v77, v4
	v_pk_fma_f16 v10, v10, v34, v43
	v_pk_fma_f16 v11, v11, v36, v44
	v_and_or_b32 v88, v94, s9, 0x64006400
	v_pk_fma_f16 v83, v83, v31, v41
	v_pk_fma_f16 v81, v81, v32, v42
	;; [unrolled: 1-line block ×4, first 2 shown]
	v_and_or_b32 v0, v73, s8, 0x64006400
	v_pk_fma_f16 v71, v71, v31, v41
	v_pk_fma_f16 v75, v75, v32, v42
	v_and_or_b32 v12, v80, s8, 0x64006400
	v_pk_fma_f16 v78, v78, v34, v43
	v_and_or_b32 v13, v86, s8, 0x64006400
	v_pk_fma_f16 v84, v84, v36, v44
	v_dual_dot2acc_f32_f16 v51, v66, v68 :: v_dual_dot2acc_f32_f16 v50, v9, v69
	v_dual_dot2acc_f32_f16 v52, v64, v68 :: v_dual_dot2acc_f32_f16 v55, v90, v1
	v_dual_dot2acc_f32_f16 v57, v93, v1 :: v_dual_add_f32 v22, v46, v22
	s_delay_alu instid0(VALU_DEP_2)
	v_dual_dot2acc_f32_f16 v59, v74, v4 :: v_dual_dot2acc_f32_f16 v52, v11, v69
	v_dual_dot2acc_f32_f16 v61, v82, v4 :: v_dual_dot2acc_f32_f16 v54, v67, v2
	v_add_f32_e32 v4, v23, v45
	v_dot2acc_f32_f16 v49, v8, v69
	v_dual_dot2acc_f32_f16 v53, v79, v2 :: v_dual_dot2acc_f32_f16 v60, v78, v5
	v_and_or_b32 v91, v97, s9, 0x64006400
	v_pk_fma_f16 v88, v88, v34, v43
	v_and_or_b32 v89, v76, s8, 0x64006400
	v_and_or_b32 v80, v80, s9, 0x64006400
	v_and_or_b32 v86, v86, s9, 0x64006400
	v_pk_fma_f16 v0, v0, v29, v37
	v_pk_fma_f16 v12, v12, v33, v38
	;; [unrolled: 1-line block ×3, first 2 shown]
	v_dual_add_f32 v21, v47, v21 :: v_dual_add_f32 v20, v48, v20
	v_dot2acc_f32_f16 v51, v10, v69
	v_dual_dot2acc_f32_f16 v55, v70, v2 :: v_dual_dot2acc_f32_f16 v58, v71, v5
	v_dual_dot2acc_f32_f16 v57, v85, v2 :: v_dual_add_f32 v2, v4, v49
	v_dual_dot2acc_f32_f16 v59, v75, v5 :: v_dual_dot2acc_f32_f16 v54, v81, v3
	v_dual_add_f32 v4, v50, v22 :: v_dual_dot2acc_f32_f16 v61, v84, v5
	v_dual_dot2acc_f32_f16 v53, v83, v3 :: v_dual_dot2acc_f32_f16 v60, v12, v6
	v_pk_fma_f16 v91, v91, v36, v44
	v_and_or_b32 v73, v73, s9, 0x64006400
	v_and_or_b32 v76, v76, s9, 0x64006400
	v_pk_fma_f16 v14, v89, v30, v40
	v_pk_fma_f16 v56, v80, v34, v43
	;; [unrolled: 1-line block ×3, first 2 shown]
	v_dual_add_f32 v8, v52, v20 :: v_dual_add_f32 v5, v51, v21
	v_dot2acc_f32_f16 v58, v0, v6
	v_dual_dot2acc_f32_f16 v55, v88, v3 :: v_dual_add_f32 v0, v2, v53
	v_dual_add_f32 v2, v54, v4 :: v_dual_dot2acc_f32_f16 v61, v13, v6
	v_dot2acc_f32_f16 v60, v56, v7
	v_pk_fma_f16 v1, v73, v31, v41
	v_pk_fma_f16 v15, v76, v32, v42
	s_delay_alu instid0(VALU_DEP_4) | instskip(SKIP_3) | instid1(VALU_DEP_2)
	v_dot2acc_f32_f16 v61, v62, v7
	v_dot2acc_f32_f16 v57, v91, v3
	;; [unrolled: 1-line block ×3, first 2 shown]
	v_dual_add_f32 v3, v55, v5 :: v_dual_dot2acc_f32_f16 v58, v1, v7
	v_dual_add_f32 v4, v57, v8 :: v_dual_dot2acc_f32_f16 v59, v15, v7
	s_delay_alu instid0(VALU_DEP_2) | instskip(NEXT) | instid1(VALU_DEP_3)
	v_add_f32_e32 v21, v60, v3
	v_add_f32_e32 v23, v0, v58
	s_delay_alu instid0(VALU_DEP_3) | instskip(NEXT) | instid1(VALU_DEP_4)
	v_add_f32_e32 v22, v59, v2
	v_add_f32_e32 v20, v61, v4
	s_cbranch_scc0 .LBB0_12
.LBB0_10:                               ; =>This Inner Loop Header: Depth=1
	s_cmp_lg_u32 s28, s19
	s_cbranch_scc1 .LBB0_9
; %bb.11:                               ;   in Loop: Header=BB0_10 Depth=1
	s_add_i32 s18, s18, 1
	s_add_i32 s19, s19, s10
	s_mul_i32 s22, s18, s11
	s_mul_i32 s30, s18, s17
	s_ashr_i32 s23, s22, 31
	s_ashr_i32 s31, s30, 31
	s_lshl_b64 s[22:23], s[22:23], 2
	s_delay_alu instid0(SALU_CYCLE_1) | instskip(SKIP_2) | instid1(SALU_CYCLE_1)
	v_add_co_u32 v0, vcc_lo, v27, s22
	v_add_co_ci_u32_e32 v1, vcc_lo, s23, v28, vcc_lo
	s_lshl_b64 s[22:23], s[30:31], 1
	v_add_co_u32 v2, vcc_lo, v25, s22
	v_add_co_ci_u32_e32 v3, vcc_lo, s23, v26, vcc_lo
	global_load_b32 v4, v[0:1], off
	global_load_b64 v[0:1], v[2:3], off
	s_waitcnt vmcnt(1)
	v_lshrrev_b32_e32 v2, v24, v4
	v_bfe_u32 v3, v4, v24, 4
	s_waitcnt vmcnt(0)
	v_alignbit_b32 v4, s0, v0, 16
	v_alignbit_b32 v5, s0, v1, 16
	v_perm_b32 v29, v0, v0, 0x5040100
	v_bfe_u32 v6, v2, 4, 4
	v_add_nc_u32_e32 v3, 1, v3
	v_bfe_u32 v7, v2, 8, 4
	v_bfe_u32 v2, v2, 12, 4
	v_pk_mul_f16 v31, 0x2c00, v0 op_sel_hi:[0,0]
	v_add_nc_u32_e32 v6, 1, v6
	v_cvt_f32_ubyte0_e32 v8, v3
	v_or_b32_e32 v3, 0xffffe400, v3
	v_add_nc_u32_e32 v7, 1, v7
	v_add_nc_u32_e32 v2, 1, v2
	v_or_b32_e32 v9, 0xffffe400, v6
	v_cvt_f32_ubyte0_e32 v6, v6
	v_pk_mul_f16 v3, v0, v3
	v_or_b32_e32 v10, 0xffffe400, v7
	v_cvt_f32_ubyte0_e32 v7, v7
	v_or_b32_e32 v11, 0xffffe400, v2
	v_cvt_f32_ubyte0_e32 v2, v2
	v_cvt_f16_f32_e32 v8, v8
	v_pack_b32_f16 v37, v3, v3
	v_cvt_f16_f32_e32 v3, v6
	v_cvt_f16_f32_e32 v7, v7
	;; [unrolled: 1-line block ×3, first 2 shown]
	v_sub_f16_e32 v8, 0xd400, v8
	v_perm_b32 v30, v0, v0, 0x7060302
	v_sub_f16_e32 v3, 0xd400, v3
	v_sub_f16_e32 v7, 0xd400, v7
	;; [unrolled: 1-line block ×3, first 2 shown]
	v_pk_mul_f16 v32, 0x2c00, v0 op_sel:[0,1] op_sel_hi:[0,1]
	v_pk_mul_f16 v6, v4, v9
	v_pk_mul_f16 v9, v1, v10
	;; [unrolled: 1-line block ×7, first 2 shown]
	v_perm_b32 v33, v1, v1, 0x5040100
	v_pk_mul_f16 v34, 0x2c00, v1 op_sel_hi:[0,0]
	v_perm_b32 v35, v1, v1, 0x7060302
	v_pack_b32_f16 v40, v6, v6
	v_pack_b32_f16 v38, v9, v9
	;; [unrolled: 1-line block ×7, first 2 shown]
	v_pk_mul_f16 v36, 0x2c00, v1 op_sel:[0,1] op_sel_hi:[0,1]
	s_branch .LBB0_9
.LBB0_12:
	s_add_u32 s0, s26, s12
	s_addc_u32 s1, s27, s13
	s_abs_i32 s7, s20
	s_load_b32 s0, s[0:1], 0x0
	v_cvt_f32_u32_e32 v0, s7
	s_sub_i32 s6, 0, s7
	s_ashr_i32 s9, s20, 31
	s_delay_alu instid0(VALU_DEP_1) | instskip(SKIP_2) | instid1(VALU_DEP_1)
	v_rcp_iflag_f32_e32 v0, v0
	s_waitcnt_depctr 0xfff
	v_mul_f32_e32 v0, 0x4f7ffffe, v0
	v_cvt_u32_f32_e32 v0, v0
	s_delay_alu instid0(VALU_DEP_1) | instskip(NEXT) | instid1(VALU_DEP_1)
	v_readfirstlane_b32 s1, v0
	s_mul_i32 s6, s6, s1
	s_delay_alu instid0(SALU_CYCLE_1)
	s_mul_hi_u32 s8, s1, s6
	s_waitcnt lgkmcnt(0)
	s_abs_i32 s6, s0
	s_add_i32 s8, s1, s8
	s_ashr_i32 s1, s0, 31
	s_mul_hi_u32 s8, s6, s8
	s_xor_b32 s9, s1, s9
	s_mul_i32 s10, s8, s7
	s_add_i32 s11, s8, 1
	s_sub_i32 s10, s6, s10
	s_delay_alu instid0(SALU_CYCLE_1)
	s_sub_i32 s12, s10, s7
	s_cmp_ge_u32 s10, s7
	s_cselect_b32 s8, s11, s8
	s_cselect_b32 s10, s12, s10
	s_add_i32 s11, s8, 1
	s_cmp_ge_u32 s10, s7
	s_cselect_b32 s7, s11, s8
	s_delay_alu instid0(SALU_CYCLE_1) | instskip(NEXT) | instid1(SALU_CYCLE_1)
	s_xor_b32 s7, s7, s9
	s_sub_i32 s7, s7, s9
	s_delay_alu instid0(SALU_CYCLE_1)
	s_cmp_ge_i32 s7, s16
	s_cbranch_scc1 .LBB0_19
; %bb.13:
	s_bitcmp1_b32 s2, 0
	s_cselect_b32 s2, -1, 0
	s_delay_alu instid0(SALU_CYCLE_1) | instskip(SKIP_2) | instid1(SALU_CYCLE_1)
	s_xor_b32 s2, s2, -1
	s_cmp_eq_u64 s[24:25], 0
	s_cselect_b32 s7, -1, 0
	s_or_b32 s2, s7, s2
	s_delay_alu instid0(SALU_CYCLE_1)
	s_and_b32 vcc_lo, exec_lo, s2
	s_cbranch_vccnz .LBB0_15
; %bb.14:
	s_lshl_b64 s[8:9], s[0:1], 2
	s_delay_alu instid0(SALU_CYCLE_1)
	s_add_u32 s8, s24, s8
	s_addc_u32 s9, s25, s9
	s_load_b32 s2, s[8:9], 0x0
	s_waitcnt lgkmcnt(0)
	v_dual_mul_f32 v23, s2, v23 :: v_dual_mul_f32 v22, s2, v22
	v_dual_mul_f32 v21, s2, v21 :: v_dual_mul_f32 v20, s2, v20
.LBB0_15:
	s_cmp_lt_i32 s3, 1
	s_cbranch_scc1 .LBB0_17
; %bb.16:
	s_abs_i32 s0, s3
	s_ashr_i32 s3, s3, 31
	v_cvt_f32_u32_e32 v0, s0
	s_sub_i32 s7, 0, s0
	s_xor_b32 s1, s1, s3
	s_delay_alu instid0(VALU_DEP_1) | instskip(SKIP_2) | instid1(VALU_DEP_1)
	v_rcp_iflag_f32_e32 v0, v0
	s_waitcnt_depctr 0xfff
	v_mul_f32_e32 v0, 0x4f7ffffe, v0
	v_cvt_u32_f32_e32 v0, v0
	s_delay_alu instid0(VALU_DEP_1) | instskip(NEXT) | instid1(VALU_DEP_1)
	v_readfirstlane_b32 s2, v0
	s_mul_i32 s7, s7, s2
	s_delay_alu instid0(SALU_CYCLE_1) | instskip(NEXT) | instid1(SALU_CYCLE_1)
	s_mul_hi_u32 s7, s2, s7
	s_add_i32 s2, s2, s7
	s_delay_alu instid0(SALU_CYCLE_1) | instskip(NEXT) | instid1(SALU_CYCLE_1)
	s_mul_hi_u32 s2, s6, s2
	s_mul_i32 s7, s2, s0
	s_delay_alu instid0(SALU_CYCLE_1)
	s_sub_i32 s3, s6, s7
	s_add_i32 s6, s2, 1
	s_sub_i32 s7, s3, s0
	s_cmp_ge_u32 s3, s0
	s_cselect_b32 s2, s6, s2
	s_cselect_b32 s3, s7, s3
	s_add_i32 s6, s2, 1
	s_cmp_ge_u32 s3, s0
	s_cselect_b32 s0, s6, s2
	s_delay_alu instid0(SALU_CYCLE_1) | instskip(NEXT) | instid1(SALU_CYCLE_1)
	s_xor_b32 s0, s0, s1
	s_sub_i32 s0, s0, s1
.LBB0_17:
	s_delay_alu instid0(SALU_CYCLE_1)
	s_mul_hi_i32 s1, s0, s17
	s_mul_i32 s0, s0, s17
	v_cvt_f16_f32_e32 v0, v23
	s_lshl_b64 s[0:1], s[0:1], 1
	v_cvt_f16_f32_e32 v1, v22
	s_add_u32 s0, s4, s0
	s_addc_u32 s1, s5, s1
	v_add_co_u32 v4, vcc_lo, s0, v16
	v_add_co_ci_u32_e32 v5, vcc_lo, s1, v17, vcc_lo
	v_cvt_f16_f32_e32 v7, v21
	v_cvt_f16_f32_e32 v8, v20
	v_pack_b32_f16 v6, v0, v1
	global_load_b64 v[2:3], v[4:5], off
	s_mov_b32 s0, 0
	v_pack_b32_f16 v7, v7, v8
.LBB0_18:                               ; =>This Inner Loop Header: Depth=1
	s_waitcnt vmcnt(0)
	v_pk_add_f16 v0, v6, v2
	s_delay_alu instid0(VALU_DEP_2)
	v_pk_add_f16 v1, v7, v3
	global_atomic_cmpswap_b64 v[0:1], v[4:5], v[0:3], off glc
	s_waitcnt vmcnt(0)
	v_cmp_eq_u64_e32 vcc_lo, v[0:1], v[2:3]
	v_dual_mov_b32 v3, v1 :: v_dual_mov_b32 v2, v0
	s_or_b32 s0, vcc_lo, s0
	s_delay_alu instid0(SALU_CYCLE_1)
	s_and_not1_b32 exec_lo, exec_lo, s0
	s_cbranch_execnz .LBB0_18
.LBB0_19:
	s_endpgm
	.section	.rodata,"a",@progbits
	.p2align	6, 0x0
	.amdhsa_kernel _ZN4vllm14moe_gptq_rdna324moe_gemm_q4_kernel_rdna3I6__halfLi1EEEvPKT_PS3_PKjS5_S8_PKfPKiSC_SC_iiiiiiiibi
		.amdhsa_group_segment_fixed_size 528
		.amdhsa_private_segment_fixed_size 0
		.amdhsa_kernarg_size 112
		.amdhsa_user_sgpr_count 13
		.amdhsa_user_sgpr_dispatch_ptr 0
		.amdhsa_user_sgpr_queue_ptr 0
		.amdhsa_user_sgpr_kernarg_segment_ptr 1
		.amdhsa_user_sgpr_dispatch_id 0
		.amdhsa_user_sgpr_private_segment_size 0
		.amdhsa_wavefront_size32 1
		.amdhsa_uses_dynamic_stack 0
		.amdhsa_enable_private_segment 0
		.amdhsa_system_sgpr_workgroup_id_x 1
		.amdhsa_system_sgpr_workgroup_id_y 1
		.amdhsa_system_sgpr_workgroup_id_z 1
		.amdhsa_system_sgpr_workgroup_info 0
		.amdhsa_system_vgpr_workitem_id 0
		.amdhsa_next_free_vgpr 98
		.amdhsa_next_free_sgpr 38
		.amdhsa_reserve_vcc 1
		.amdhsa_float_round_mode_32 0
		.amdhsa_float_round_mode_16_64 0
		.amdhsa_float_denorm_mode_32 3
		.amdhsa_float_denorm_mode_16_64 3
		.amdhsa_dx10_clamp 1
		.amdhsa_ieee_mode 1
		.amdhsa_fp16_overflow 0
		.amdhsa_workgroup_processor_mode 1
		.amdhsa_memory_ordered 1
		.amdhsa_forward_progress 0
		.amdhsa_shared_vgpr_count 0
		.amdhsa_exception_fp_ieee_invalid_op 0
		.amdhsa_exception_fp_denorm_src 0
		.amdhsa_exception_fp_ieee_div_zero 0
		.amdhsa_exception_fp_ieee_overflow 0
		.amdhsa_exception_fp_ieee_underflow 0
		.amdhsa_exception_fp_ieee_inexact 0
		.amdhsa_exception_int_div_zero 0
	.end_amdhsa_kernel
	.section	.text._ZN4vllm14moe_gptq_rdna324moe_gemm_q4_kernel_rdna3I6__halfLi1EEEvPKT_PS3_PKjS5_S8_PKfPKiSC_SC_iiiiiiiibi,"axG",@progbits,_ZN4vllm14moe_gptq_rdna324moe_gemm_q4_kernel_rdna3I6__halfLi1EEEvPKT_PS3_PKjS5_S8_PKfPKiSC_SC_iiiiiiiibi,comdat
.Lfunc_end0:
	.size	_ZN4vllm14moe_gptq_rdna324moe_gemm_q4_kernel_rdna3I6__halfLi1EEEvPKT_PS3_PKjS5_S8_PKfPKiSC_SC_iiiiiiiibi, .Lfunc_end0-_ZN4vllm14moe_gptq_rdna324moe_gemm_q4_kernel_rdna3I6__halfLi1EEEvPKT_PS3_PKjS5_S8_PKfPKiSC_SC_iiiiiiiibi
                                        ; -- End function
	.section	.AMDGPU.csdata,"",@progbits
; Kernel info:
; codeLenInByte = 4412
; NumSgprs: 40
; NumVgprs: 98
; ScratchSize: 0
; MemoryBound: 0
; FloatMode: 240
; IeeeMode: 1
; LDSByteSize: 528 bytes/workgroup (compile time only)
; SGPRBlocks: 4
; VGPRBlocks: 12
; NumSGPRsForWavesPerEU: 40
; NumVGPRsForWavesPerEU: 98
; Occupancy: 12
; WaveLimiterHint : 1
; COMPUTE_PGM_RSRC2:SCRATCH_EN: 0
; COMPUTE_PGM_RSRC2:USER_SGPR: 13
; COMPUTE_PGM_RSRC2:TRAP_HANDLER: 0
; COMPUTE_PGM_RSRC2:TGID_X_EN: 1
; COMPUTE_PGM_RSRC2:TGID_Y_EN: 1
; COMPUTE_PGM_RSRC2:TGID_Z_EN: 1
; COMPUTE_PGM_RSRC2:TIDIG_COMP_CNT: 0
	.section	.text._ZN4vllm14moe_gptq_rdna324moe_gemm_q4_kernel_rdna3I6__halfLi2EEEvPKT_PS3_PKjS5_S8_PKfPKiSC_SC_iiiiiiiibi,"axG",@progbits,_ZN4vllm14moe_gptq_rdna324moe_gemm_q4_kernel_rdna3I6__halfLi2EEEvPKT_PS3_PKjS5_S8_PKfPKiSC_SC_iiiiiiiibi,comdat
	.protected	_ZN4vllm14moe_gptq_rdna324moe_gemm_q4_kernel_rdna3I6__halfLi2EEEvPKT_PS3_PKjS5_S8_PKfPKiSC_SC_iiiiiiiibi ; -- Begin function _ZN4vllm14moe_gptq_rdna324moe_gemm_q4_kernel_rdna3I6__halfLi2EEEvPKT_PS3_PKjS5_S8_PKfPKiSC_SC_iiiiiiiibi
	.globl	_ZN4vllm14moe_gptq_rdna324moe_gemm_q4_kernel_rdna3I6__halfLi2EEEvPKT_PS3_PKjS5_S8_PKfPKiSC_SC_iiiiiiiibi
	.p2align	8
	.type	_ZN4vllm14moe_gptq_rdna324moe_gemm_q4_kernel_rdna3I6__halfLi2EEEvPKT_PS3_PKjS5_S8_PKfPKiSC_SC_iiiiiiiibi,@function
_ZN4vllm14moe_gptq_rdna324moe_gemm_q4_kernel_rdna3I6__halfLi2EEEvPKT_PS3_PKjS5_S8_PKfPKiSC_SC_iiiiiiiibi: ; @_ZN4vllm14moe_gptq_rdna324moe_gemm_q4_kernel_rdna3I6__halfLi2EEEvPKT_PS3_PKjS5_S8_PKfPKiSC_SC_iiiiiiiibi
; %bb.0:
	s_load_b64 s[4:5], s[0:1], 0x40
	s_lshl_b32 s12, s13, 1
	s_waitcnt lgkmcnt(0)
	s_load_b32 s3, s[4:5], 0x0
	s_waitcnt lgkmcnt(0)
	s_cmp_ge_i32 s12, s3
	s_cbranch_scc1 .LBB1_32
; %bb.1:
	s_load_b64 s[4:5], s[0:1], 0x38
	s_mov_b32 s2, s13
	s_ashr_i32 s3, s13, 31
	s_delay_alu instid0(SALU_CYCLE_1)
	s_lshl_b64 s[2:3], s[2:3], 2
	s_waitcnt lgkmcnt(0)
	s_add_u32 s2, s4, s2
	s_addc_u32 s3, s5, s3
	s_load_b32 s30, s[2:3], 0x0
	s_waitcnt lgkmcnt(0)
	s_cmp_eq_u32 s30, -1
	s_cbranch_scc1 .LBB1_32
; %bb.2:
	s_clause 0x3
	s_load_b256 s[4:11], s[0:1], 0x48
	s_load_b256 s[16:23], s[0:1], 0x8
	s_load_b128 s[24:27], s[0:1], 0x28
	s_load_b64 s[2:3], s[0:1], 0x68
	s_lshl_b32 s28, s15, 8
	s_mov_b32 s31, exec_lo
	v_add_nc_u32_e32 v1, s28, v0
	s_add_i32 s13, s28, 0x100
	s_waitcnt lgkmcnt(0)
	s_min_i32 s15, s13, s6
	s_delay_alu instid0(VALU_DEP_1) | instid1(SALU_CYCLE_1)
	v_cmpx_gt_i32_e64 s15, v1
	s_cbranch_execz .LBB1_8
; %bb.3:
	s_load_b64 s[0:1], s[0:1], 0x0
	s_ashr_i32 s29, s28, 31
	v_mov_b32_e32 v5, 0
	s_lshl_b64 s[34:35], s[28:29], 1
	v_mov_b32_e32 v4, 0
	s_waitcnt lgkmcnt(0)
	s_add_u32 s34, s0, s34
	s_addc_u32 s35, s1, s35
	s_ashr_i32 s13, s12, 31
	s_delay_alu instid0(SALU_CYCLE_1) | instskip(NEXT) | instid1(SALU_CYCLE_1)
	s_lshl_b64 s[0:1], s[12:13], 2
	s_add_u32 s0, s26, s0
	s_addc_u32 s1, s27, s1
	s_abs_i32 s13, s8
	s_load_b32 s36, s[0:1], 0x0
	v_cvt_f32_u32_e32 v1, s13
	s_sub_i32 s29, 0, s13
	s_delay_alu instid0(VALU_DEP_1) | instskip(SKIP_4) | instid1(VALU_DEP_1)
	v_rcp_iflag_f32_e32 v1, v1
	s_waitcnt_depctr 0xfff
	v_mul_f32_e32 v1, 0x4f7ffffe, v1
	s_waitcnt lgkmcnt(0)
	s_abs_i32 s37, s36
	v_cvt_u32_f32_e32 v1, v1
	s_ashr_i32 s36, s36, 31
	s_delay_alu instid0(VALU_DEP_1) | instskip(SKIP_1) | instid1(VALU_DEP_2)
	v_readfirstlane_b32 s33, v1
	v_lshlrev_b32_e32 v1, 1, v0
	s_mul_i32 s29, s29, s33
	s_delay_alu instid0(VALU_DEP_1)
	v_add_co_u32 v2, s34, s34, v1
	s_mul_hi_u32 s29, s33, s29
	v_add_co_ci_u32_e64 v3, null, s35, 0, s34
	s_add_i32 s33, s33, s29
	s_ashr_i32 s29, s8, 31
	s_mul_hi_u32 s38, s37, s33
	s_xor_b32 s36, s36, s29
	s_mul_i32 s39, s38, s13
	s_delay_alu instid0(SALU_CYCLE_1)
	s_sub_i32 s37, s37, s39
	s_add_i32 s39, s38, 1
	s_sub_i32 s40, s37, s13
	s_cmp_ge_u32 s37, s13
	s_cselect_b32 s38, s39, s38
	s_cselect_b32 s37, s40, s37
	s_add_i32 s39, s38, 1
	s_cmp_ge_u32 s37, s13
	s_cselect_b32 s37, s39, s38
	s_delay_alu instid0(SALU_CYCLE_1) | instskip(NEXT) | instid1(SALU_CYCLE_1)
	s_xor_b32 s37, s37, s36
	s_sub_i32 s34, s37, s36
	s_delay_alu instid0(SALU_CYCLE_1)
	s_cmp_ge_i32 s34, s4
	s_cbranch_scc1 .LBB1_5
; %bb.4:
	s_mul_hi_i32 s35, s34, s6
	s_mul_i32 s34, s34, s6
	s_delay_alu instid0(SALU_CYCLE_1) | instskip(NEXT) | instid1(SALU_CYCLE_1)
	s_lshl_b64 s[34:35], s[34:35], 1
	v_add_co_u32 v5, vcc_lo, v2, s34
	v_add_co_ci_u32_e32 v6, vcc_lo, s35, v3, vcc_lo
	global_load_u16 v5, v[5:6], off
.LBB1_5:
	s_load_b32 s0, s[0:1], 0x4
	s_waitcnt vmcnt(0)
	ds_store_b16 v1, v5
	s_waitcnt lgkmcnt(0)
	s_abs_i32 s1, s0
	s_ashr_i32 s0, s0, 31
	s_mul_hi_u32 s33, s1, s33
	s_xor_b32 s0, s0, s29
	s_mul_i32 s34, s33, s13
	s_add_i32 s29, s33, 1
	s_sub_i32 s1, s1, s34
	s_delay_alu instid0(SALU_CYCLE_1)
	s_sub_i32 s34, s1, s13
	s_cmp_ge_u32 s1, s13
	s_cselect_b32 s29, s29, s33
	s_cselect_b32 s1, s34, s1
	s_add_i32 s33, s29, 1
	s_cmp_ge_u32 s1, s13
	s_cselect_b32 s1, s33, s29
	s_delay_alu instid0(SALU_CYCLE_1) | instskip(NEXT) | instid1(SALU_CYCLE_1)
	s_xor_b32 s1, s1, s0
	s_sub_i32 s0, s1, s0
	s_delay_alu instid0(SALU_CYCLE_1)
	s_cmp_ge_i32 s0, s4
	s_cbranch_scc1 .LBB1_7
; %bb.6:
	s_mul_hi_i32 s1, s0, s6
	s_mul_i32 s0, s0, s6
	s_delay_alu instid0(SALU_CYCLE_1) | instskip(NEXT) | instid1(SALU_CYCLE_1)
	s_lshl_b64 s[0:1], s[0:1], 1
	v_add_co_u32 v2, vcc_lo, v2, s0
	v_add_co_ci_u32_e32 v3, vcc_lo, s1, v3, vcc_lo
	global_load_u16 v4, v[2:3], off
.LBB1_7:
	s_waitcnt vmcnt(0)
	ds_store_b16 v1, v4 offset:528
.LBB1_8:
	s_or_b32 exec_lo, exec_lo, s31
	v_lshlrev_b32_e32 v1, 2, v0
	s_waitcnt lgkmcnt(0)
	s_barrier
	buffer_gl0_inv
	s_mov_b32 s0, exec_lo
	v_lshl_add_u32 v1, s14, 10, v1
	s_delay_alu instid0(VALU_DEP_1)
	v_cmpx_gt_i32_e64 s5, v1
	s_cbranch_execz .LBB1_32
; %bb.9:
	s_abs_i32 s13, s7
	s_cmp_lt_i32 s28, s6
	v_cvt_f32_u32_e32 v2, s13
	s_mov_b32 s29, 0
	s_delay_alu instid0(VALU_DEP_1) | instskip(SKIP_2) | instid1(VALU_DEP_1)
	v_rcp_iflag_f32_e32 v2, v2
	s_waitcnt_depctr 0xfff
	v_mul_f32_e32 v2, 0x4f7ffffe, v2
	v_cvt_u32_f32_e32 v2, v2
	s_delay_alu instid0(VALU_DEP_1)
	v_readfirstlane_b32 s14, v2
	v_ashrrev_i32_e32 v2, 31, v1
	s_cbranch_scc1 .LBB1_11
; %bb.10:
	s_ashr_i32 s1, s5, 31
	s_mov_b32 s0, s5
	s_mov_b32 s31, 0
	s_branch .LBB1_12
.LBB1_11:
	s_mov_b32 s29, -1
                                        ; implicit-def: $sgpr31
                                        ; implicit-def: $sgpr0_sgpr1
.LBB1_12:
	s_delay_alu instid0(VALU_DEP_1)
	v_lshlrev_b64 v[24:25], 1, v[1:2]
	v_dual_mov_b32 v31, s31 :: v_dual_mov_b32 v28, s31
	v_dual_mov_b32 v29, s31 :: v_dual_mov_b32 v30, s31
	;; [unrolled: 1-line block ×4, first 2 shown]
	s_and_not1_b32 vcc_lo, exec_lo, s29
	s_cbranch_vccnz .LBB1_17
; %bb.13:
	s_sub_i32 s0, 0, s13
	s_mul_hi_i32 s1, s30, s10
	s_mul_i32 s0, s0, s14
	s_abs_i32 s29, s6
	s_mul_hi_u32 s31, s14, s0
	s_mul_i32 s0, s30, s10
	s_add_i32 s14, s14, s31
	s_lshl_b64 s[0:1], s[0:1], 1
	s_ashr_i32 s10, s6, 31
	s_ashr_i32 s31, s7, 31
	s_mul_hi_i32 s7, s30, s11
	s_mul_i32 s6, s30, s11
	s_add_u32 s33, s20, s0
	s_addc_u32 s34, s21, s1
	s_lshl_b64 s[0:1], s[6:7], 2
	s_mul_hi_u32 s6, s29, s14
	s_add_u32 s22, s22, s0
	s_mul_i32 s0, s6, s13
	s_addc_u32 s23, s23, s1
	s_sub_i32 s0, s29, s0
	s_xor_b32 s1, s10, s31
	s_add_i32 s7, s6, 1
	s_sub_i32 s10, s0, s13
	s_cmp_ge_u32 s0, s13
	v_lshrrev_b32_e32 v4, 29, v2
	s_cselect_b32 s6, s7, s6
	s_cselect_b32 s0, s10, s0
	s_add_i32 s7, s6, 1
	s_cmp_ge_u32 s0, s13
	v_dual_mov_b32 v35, 0 :: v_dual_mov_b32 v32, 0
	s_cselect_b32 s0, s7, s6
	s_abs_i32 s10, s28
	s_xor_b32 s0, s0, s1
	v_dual_mov_b32 v33, 0 :: v_dual_mov_b32 v30, 0
	s_sub_i32 s13, s0, s1
	s_ashr_i32 s1, s5, 31
	s_abs_i32 s0, s13
	s_lshr_b32 s11, s1, 29
	v_cvt_f32_u32_e32 v3, s0
	s_sub_i32 s7, 0, s0
	s_add_i32 s11, s5, s11
	v_dual_mov_b32 v29, 0 :: v_dual_mov_b32 v28, 0
	s_delay_alu instid0(VALU_DEP_2)
	v_rcp_iflag_f32_e32 v3, v3
	s_ashr_i32 s14, s11, 3
	s_mov_b32 s21, 0
	v_dual_mov_b32 v34, 0 :: v_dual_mov_b32 v31, 0
	s_waitcnt_depctr 0xfff
	v_mul_f32_e32 v3, 0x4f7ffffe, v3
	s_delay_alu instid0(VALU_DEP_1) | instskip(NEXT) | instid1(VALU_DEP_1)
	v_cvt_u32_f32_e32 v3, v3
	v_readfirstlane_b32 s6, v3
	v_add_nc_u32_e32 v3, v1, v4
	s_delay_alu instid0(VALU_DEP_2) | instskip(NEXT) | instid1(VALU_DEP_1)
	s_mul_i32 s7, s7, s6
	v_ashrrev_i32_e32 v3, 3, v3
	s_mul_hi_u32 s7, s6, s7
	s_delay_alu instid0(SALU_CYCLE_1)
	s_add_i32 s6, s6, s7
	s_xor_b32 s7, s28, s13
	s_mul_hi_u32 s6, s10, s6
	s_ashr_i32 s7, s7, 31
	s_mul_i32 s11, s6, s0
	v_ashrrev_i32_e32 v4, 31, v3
	s_sub_i32 s10, s10, s11
	s_add_i32 s11, s6, 1
	s_sub_i32 s20, s10, s0
	s_cmp_ge_u32 s10, s0
	v_lshlrev_b64 v[3:4], 2, v[3:4]
	s_cselect_b32 s6, s11, s6
	s_cselect_b32 s10, s20, s10
	s_add_i32 s11, s6, 1
	s_cmp_ge_u32 s10, s0
	s_cselect_b32 s0, s11, s6
	s_delay_alu instid0(SALU_CYCLE_1) | instskip(NEXT) | instid1(SALU_CYCLE_1)
	s_xor_b32 s0, s0, s7
	s_sub_i32 s20, s0, s7
	s_delay_alu instid0(SALU_CYCLE_1) | instskip(SKIP_2) | instid1(SALU_CYCLE_1)
	s_mul_i32 s6, s20, s5
	s_mul_i32 s10, s20, s14
	s_ashr_i32 s7, s6, 31
	s_lshl_b64 s[6:7], s[6:7], 1
	s_delay_alu instid0(SALU_CYCLE_1)
	s_add_u32 s0, s33, s6
	s_addc_u32 s6, s34, s7
	s_ashr_i32 s11, s10, 31
	v_add_co_u32 v5, vcc_lo, s0, v24
	v_add_co_ci_u32_e32 v6, vcc_lo, s6, v25, vcc_lo
	s_lshl_b64 s[6:7], s[10:11], 2
	s_mul_hi_i32 s11, s30, s9
	s_add_u32 s0, s22, s6
	s_addc_u32 s6, s23, s7
	v_add_co_u32 v7, vcc_lo, s0, v3
	v_add_co_ci_u32_e32 v8, vcc_lo, s6, v4, vcc_lo
	global_load_b64 v[5:6], v[5:6], off
	v_add_co_u32 v37, vcc_lo, s33, v24
	global_load_b32 v7, v[7:8], off
	v_lshlrev_b32_e32 v8, 4, v0
	v_lshlrev_b64 v[0:1], 2, v[1:2]
	v_add_co_ci_u32_e32 v38, vcc_lo, s34, v25, vcc_lo
	v_add_co_u32 v39, vcc_lo, s22, v3
	s_delay_alu instid0(VALU_DEP_4)
	v_and_b32_e32 v36, 16, v8
	v_add_co_ci_u32_e32 v40, vcc_lo, s23, v4, vcc_lo
	s_mul_i32 s10, s30, s9
	s_ashr_i32 s9, s28, 3
	s_mov_b32 s0, s5
	s_mul_i32 s30, s9, s5
	s_add_i32 s23, s20, 1
	s_ashr_i32 s31, s30, 31
	s_lshl_b32 s22, s5, 2
	s_lshl_b64 s[10:11], s[10:11], 2
	s_lshl_b64 s[30:31], s[30:31], 2
	;; [unrolled: 1-line block ×3, first 2 shown]
	s_mul_i32 s9, s23, s13
	s_ashr_i32 s23, s22, 31
	s_add_u32 s10, s10, s30
	s_addc_u32 s11, s11, s31
	s_add_u32 s10, s18, s10
	s_addc_u32 s11, s19, s11
	v_add_co_u32 v26, vcc_lo, s10, v0
	v_add_co_ci_u32_e32 v27, vcc_lo, s11, v1, vcc_lo
	s_lshl_b64 s[10:11], s[22:23], 2
	s_mov_b32 s18, 0xf000f
	s_mov_b32 s19, 0xf000f0
	s_waitcnt vmcnt(1)
	v_alignbit_b32 v0, s0, v6, 16
	v_alignbit_b32 v1, s0, v5, 16
	v_perm_b32 v47, v6, v6, 0x7060302
	s_waitcnt vmcnt(0)
	v_lshrrev_b32_e32 v2, v8, v7
	v_bfe_u32 v3, v7, v36, 4
	v_pk_mul_f16 v48, 0x2c00, v6 op_sel:[0,1] op_sel_hi:[0,1]
	v_perm_b32 v45, v6, v6, 0x5040100
	v_pk_mul_f16 v46, 0x2c00, v6 op_sel_hi:[0,0]
	v_bfe_u32 v4, v2, 12, 4
	v_bfe_u32 v7, v2, 8, 4
	;; [unrolled: 1-line block ×3, first 2 shown]
	v_add_nc_u32_e32 v3, 1, v3
	v_perm_b32 v42, v5, v5, 0x7060302
	v_add_nc_u32_e32 v4, 1, v4
	v_add_nc_u32_e32 v7, 1, v7
	;; [unrolled: 1-line block ×3, first 2 shown]
	v_or_b32_e32 v8, 0xffffe400, v3
	v_cvt_f32_ubyte0_e32 v3, v3
	v_or_b32_e32 v9, 0xffffe400, v4
	v_or_b32_e32 v10, 0xffffe400, v7
	;; [unrolled: 1-line block ×3, first 2 shown]
	v_cvt_f32_ubyte0_e32 v4, v4
	v_cvt_f32_ubyte0_e32 v7, v7
	;; [unrolled: 1-line block ×3, first 2 shown]
	v_cvt_f16_f32_e32 v3, v3
	v_pk_mul_f16 v8, v5, v8
	v_cvt_f16_f32_e32 v4, v4
	v_cvt_f16_f32_e32 v7, v7
	;; [unrolled: 1-line block ×3, first 2 shown]
	v_sub_f16_e32 v3, 0xd400, v3
	v_pk_mul_f16 v9, v0, v9
	v_sub_f16_e32 v4, 0xd400, v4
	v_sub_f16_e32 v7, 0xd400, v7
	v_sub_f16_e32 v2, 0xd400, v2
	v_pk_mul_f16 v10, v6, v10
	v_pk_mul_f16 v11, v1, v11
	v_pk_mul_f16 v3, v3, v5
	v_pk_mul_f16 v0, v4, v0
	v_pk_mul_f16 v4, v7, v6
	v_pk_mul_f16 v1, v2, v1
	v_pk_mul_f16 v44, 0x2c00, v5 op_sel:[0,1] op_sel_hi:[0,1]
	v_perm_b32 v41, v5, v5, 0x5040100
	v_pk_mul_f16 v43, 0x2c00, v5 op_sel_hi:[0,0]
	v_pack_b32_f16 v49, v8, v8
	v_pack_b32_f16 v51, v9, v9
	;; [unrolled: 1-line block ×8, first 2 shown]
	s_branch .LBB1_15
.LBB1_14:                               ;   in Loop: Header=BB1_15 Depth=1
	v_add_co_u32 v0, vcc_lo, v26, s6
	global_load_b128 v[12:15], v[26:27], off
	v_add_co_ci_u32_e32 v1, vcc_lo, s7, v27, vcc_lo
	v_dual_mov_b32 v65, s21 :: v_dual_mov_b32 v58, 0
	v_dual_mov_b32 v59, 0 :: v_dual_mov_b32 v60, 0
	global_load_b128 v[8:11], v[0:1], off
	v_add_co_u32 v0, vcc_lo, v0, s6
	v_add_co_ci_u32_e32 v1, vcc_lo, s7, v1, vcc_lo
	v_dual_mov_b32 v57, 0 :: v_dual_mov_b32 v62, 0
	v_dual_mov_b32 v61, 0 :: v_dual_mov_b32 v64, 0
	global_load_b128 v[4:7], v[0:1], off
	v_add_co_u32 v0, vcc_lo, v0, s6
	v_add_co_ci_u32_e32 v1, vcc_lo, s7, v1, vcc_lo
	v_add_co_u32 v26, vcc_lo, v26, s10
	v_add_co_ci_u32_e32 v27, vcc_lo, s11, v27, vcc_lo
	global_load_b128 v[0:3], v[0:1], off
	ds_load_b128 v[16:19], v65
	ds_load_b128 v[20:23], v65 offset:16
	s_add_i32 s28, s28, 32
	s_add_i32 s21, s21, 64
	s_cmp_ge_i32 s28, s15
	s_waitcnt vmcnt(3)
	v_and_or_b32 v66, v12, s18, 0x64006400
	v_and_or_b32 v68, v13, s18, 0x64006400
	;; [unrolled: 1-line block ×4, first 2 shown]
	v_lshrrev_b32_e32 v14, 8, v14
	v_and_or_b32 v72, v15, s18, 0x64006400
	v_and_or_b32 v73, v15, s19, 0x64006400
	v_lshrrev_b32_e32 v15, 8, v15
	v_and_or_b32 v67, v12, s19, 0x64006400
	v_lshrrev_b32_e32 v12, 8, v12
	v_and_or_b32 v69, v13, s19, 0x64006400
	v_lshrrev_b32_e32 v13, 8, v13
	v_pk_fma_f16 v78, v66, v41, v49
	s_waitcnt vmcnt(2)
	v_and_or_b32 v79, v8, s18, 0x64006400
	v_and_or_b32 v80, v8, s19, 0x64006400
	v_lshrrev_b32_e32 v82, 8, v8
	v_and_or_b32 v81, v9, s18, 0x64006400
	v_and_or_b32 v83, v9, s19, 0x64006400
	v_lshrrev_b32_e32 v84, 8, v9
	v_pk_fma_f16 v8, v68, v42, v52
	v_pk_fma_f16 v9, v70, v45, v50
	;; [unrolled: 1-line block ×3, first 2 shown]
	v_and_or_b32 v74, v14, s18, 0x64006400
	v_pk_fma_f16 v93, v71, v46, v55
	v_and_or_b32 v75, v15, s18, 0x64006400
	v_pk_fma_f16 v94, v73, v48, v56
	ds_load_b128 v[70:73], v65 offset:528
	s_waitcnt lgkmcnt(2)
	v_dual_mov_b32 v63, 0 :: v_dual_dot2acc_f32_f16 v58, v78, v16
	v_and_or_b32 v85, v10, s18, 0x64006400
	v_and_or_b32 v86, v10, s19, 0x64006400
	v_lshrrev_b32_e32 v87, 8, v10
	v_and_or_b32 v88, v11, s18, 0x64006400
	v_and_or_b32 v89, v11, s19, 0x64006400
	v_lshrrev_b32_e32 v90, 8, v11
	v_and_or_b32 v10, v12, s18, 0x64006400
	v_and_or_b32 v11, v12, s19, 0x64006400
	v_pk_fma_f16 v12, v67, v43, v53
	v_and_or_b32 v66, v13, s18, 0x64006400
	v_pk_fma_f16 v92, v69, v44, v54
	v_dot2acc_f32_f16 v60, v91, v16
	v_dot2acc_f32_f16 v59, v8, v16
	v_pk_fma_f16 v106, v74, v45, v50
	v_pk_fma_f16 v108, v75, v47, v51
	ds_load_b128 v[74:77], v65 offset:544
	v_dot2acc_f32_f16 v60, v94, v17
	v_and_or_b32 v13, v13, s19, 0x64006400
	v_dual_dot2acc_f32_f16 v57, v9, v16 :: v_dual_dot2acc_f32_f16 v58, v12, v17
	v_pk_fma_f16 v16, v10, v41, v49
	v_pk_fma_f16 v96, v66, v42, v52
	v_dot2acc_f32_f16 v59, v92, v17
	v_and_or_b32 v14, v14, s19, 0x64006400
	v_and_or_b32 v15, v15, s19, 0x64006400
	v_pk_fma_f16 v95, v11, v43, v53
	v_pk_fma_f16 v105, v13, v44, v54
	v_dual_dot2acc_f32_f16 v57, v93, v17 :: v_dual_dot2acc_f32_f16 v58, v16, v18
	v_dot2acc_f32_f16 v59, v96, v18
	s_waitcnt vmcnt(1)
	v_and_or_b32 v99, v5, s18, 0x64006400
	v_and_or_b32 v100, v5, s19, 0x64006400
	v_lshrrev_b32_e32 v69, 8, v5
	v_dot2acc_f32_f16 v58, v95, v19
	v_and_or_b32 v101, v6, s18, 0x64006400
	v_and_or_b32 v102, v6, s19, 0x64006400
	v_lshrrev_b32_e32 v67, 8, v6
	v_pk_fma_f16 v107, v14, v46, v55
	v_pk_fma_f16 v109, v15, v48, v56
	v_dual_dot2acc_f32_f16 v60, v108, v18 :: v_dual_mov_b32 v5, 0
	v_dot2acc_f32_f16 v57, v106, v18
	s_waitcnt lgkmcnt(1)
	v_dual_dot2acc_f32_f16 v59, v105, v19 :: v_dual_dot2acc_f32_f16 v62, v8, v70
	v_dual_dot2acc_f32_f16 v61, v78, v70 :: v_dual_mov_b32 v10, 0
	v_dot2acc_f32_f16 v63, v9, v70
	v_pk_fma_f16 v6, v79, v41, v49
	s_delay_alu instid0(VALU_DEP_4)
	v_dot2acc_f32_f16 v62, v92, v71
	v_and_or_b32 v103, v7, s18, 0x64006400
	v_and_or_b32 v104, v7, s19, 0x64006400
	v_lshrrev_b32_e32 v66, 8, v7
	v_dot2acc_f32_f16 v60, v109, v19
	v_dual_dot2acc_f32_f16 v57, v107, v19 :: v_dual_mov_b32 v8, 0
	v_dual_mov_b32 v7, 0 :: v_dual_dot2acc_f32_f16 v64, v91, v70
	v_mov_b32_e32 v9, 0
	v_dot2acc_f32_f16 v61, v12, v71
	v_dual_mov_b32 v11, 0 :: v_dual_mov_b32 v12, 0
	s_delay_alu instid0(VALU_DEP_4)
	v_dot2acc_f32_f16 v64, v94, v71
	s_waitcnt lgkmcnt(0)
	v_dual_dot2acc_f32_f16 v63, v93, v71 :: v_dual_dot2acc_f32_f16 v10, v6, v74
	v_mov_b32_e32 v13, 0
	v_pk_fma_f16 v14, v81, v42, v52
	v_pk_fma_f16 v17, v85, v45, v50
	v_dot2acc_f32_f16 v5, v6, v20
	v_pk_fma_f16 v18, v88, v47, v51
	v_pk_fma_f16 v19, v80, v43, v53
	v_and_or_b32 v97, v4, s18, 0x64006400
	v_dot2acc_f32_f16 v12, v17, v74
	v_and_or_b32 v98, v4, s19, 0x64006400
	v_lshrrev_b32_e32 v68, 8, v4
	v_mov_b32_e32 v4, 0
	v_dual_mov_b32 v6, 0 :: v_dual_dot2acc_f32_f16 v7, v14, v20
	v_dual_dot2acc_f32_f16 v11, v14, v74 :: v_dual_dot2acc_f32_f16 v8, v17, v20
	v_dot2acc_f32_f16 v9, v18, v20
	v_dual_dot2acc_f32_f16 v13, v18, v74 :: v_dual_dot2acc_f32_f16 v62, v96, v72
	v_dual_dot2acc_f32_f16 v61, v16, v72 :: v_dual_dot2acc_f32_f16 v10, v19, v75
	v_pk_fma_f16 v20, v86, v46, v55
	v_dot2acc_f32_f16 v5, v19, v21
	v_pk_fma_f16 v19, v83, v44, v54
	v_mov_b32_e32 v14, 0
	v_dot2acc_f32_f16 v62, v105, v73
	v_pk_fma_f16 v83, v89, v48, v56
	s_delay_alu instid0(VALU_DEP_4)
	v_dual_mov_b32 v18, 0 :: v_dual_dot2acc_f32_f16 v11, v19, v75
	v_dot2acc_f32_f16 v7, v19, v21
	v_and_or_b32 v19, v82, s18, 0x64006400
	v_dual_dot2acc_f32_f16 v63, v106, v72 :: v_dual_mov_b32 v88, 0
	v_dual_dot2acc_f32_f16 v64, v108, v72 :: v_dual_mov_b32 v85, 0
	v_dot2acc_f32_f16 v12, v20, v75
	s_delay_alu instid0(VALU_DEP_4)
	v_pk_fma_f16 v19, v19, v41, v49
	v_dot2acc_f32_f16 v8, v20, v21
	v_dot2acc_f32_f16 v9, v83, v21
	v_and_or_b32 v21, v87, s18, 0x64006400
	v_dual_dot2acc_f32_f16 v64, v109, v73 :: v_dual_dot2acc_f32_f16 v13, v83, v75
	v_dot2acc_f32_f16 v5, v19, v22
	v_and_or_b32 v20, v84, s18, 0x64006400
	s_delay_alu instid0(VALU_DEP_4)
	v_pk_fma_f16 v21, v21, v45, v50
	v_dot2acc_f32_f16 v61, v95, v73
	v_dot2acc_f32_f16 v63, v107, v73
	ds_load_b128 v[70:73], v65 offset:32
	ds_load_b128 v[78:81], v65 offset:48
	v_pk_fma_f16 v20, v20, v42, v52
	v_dot2acc_f32_f16 v12, v21, v76
	v_dot2acc_f32_f16 v10, v19, v76
	v_and_or_b32 v19, v90, s18, 0x64006400
	v_and_or_b32 v75, v87, s19, 0x64006400
	;; [unrolled: 1-line block ×3, first 2 shown]
	v_pk_fma_f16 v90, v97, v41, v49
	v_dot2acc_f32_f16 v8, v21, v22
	v_pk_fma_f16 v86, v19, v47, v51
	v_pk_fma_f16 v75, v75, v46, v55
	v_dot2acc_f32_f16 v11, v20, v76
	v_and_or_b32 v82, v82, s19, 0x64006400
	v_and_or_b32 v84, v84, s19, 0x64006400
	s_delay_alu instid0(VALU_DEP_4) | instskip(SKIP_1) | instid1(VALU_DEP_4)
	v_dual_dot2acc_f32_f16 v9, v86, v22 :: v_dual_dot2acc_f32_f16 v12, v75, v77
	v_pk_fma_f16 v83, v83, v48, v56
	v_pk_fma_f16 v82, v82, v43, v53
	s_delay_alu instid0(VALU_DEP_4)
	v_pk_fma_f16 v84, v84, v44, v54
	s_waitcnt lgkmcnt(1)
	v_dot2acc_f32_f16 v4, v90, v70
	v_dot2acc_f32_f16 v7, v20, v22
	ds_load_b128 v[19:22], v65 offset:560
	v_dot2acc_f32_f16 v13, v86, v76
	v_dual_mov_b32 v15, 0 :: v_dual_mov_b32 v16, 0
	v_dual_mov_b32 v17, 0 :: v_dual_mov_b32 v74, 0
	s_waitcnt vmcnt(0)
	v_and_or_b32 v87, v0, s18, 0x64006400
	v_and_or_b32 v89, v0, s19, 0x64006400
	v_dot2acc_f32_f16 v5, v82, v23
	v_dual_dot2acc_f32_f16 v7, v84, v23 :: v_dual_dot2acc_f32_f16 v10, v82, v77
	v_dot2acc_f32_f16 v8, v75, v23
	v_and_or_b32 v76, v1, s18, 0x64006400
	v_and_or_b32 v82, v1, s19, 0x64006400
	v_lshrrev_b32_e32 v75, 8, v1
	v_and_or_b32 v86, v3, s18, 0x64006400
	v_and_or_b32 v91, v3, s19, 0x64006400
	v_lshrrev_b32_e32 v92, 8, v3
	v_pk_fma_f16 v93, v101, v45, v50
	v_dot2acc_f32_f16 v11, v84, v77
	v_lshrrev_b32_e32 v84, 8, v2
	v_pk_fma_f16 v94, v103, v47, v51
	v_dot2acc_f32_f16 v9, v83, v23
	v_lshrrev_b32_e32 v23, 8, v0
	v_dot2acc_f32_f16 v13, v83, v77
	v_and_or_b32 v77, v2, s18, 0x64006400
	v_and_or_b32 v83, v2, s19, 0x64006400
	ds_load_b128 v[0:3], v65 offset:576
	s_waitcnt lgkmcnt(1)
	v_dot2acc_f32_f16 v74, v94, v19
	v_pk_fma_f16 v65, v99, v42, v52
	v_dot2acc_f32_f16 v6, v90, v19
	v_pk_fma_f16 v95, v98, v43, v53
	v_dot2acc_f32_f16 v17, v93, v70
	v_dot2acc_f32_f16 v16, v93, v19
	;; [unrolled: 1-line block ×4, first 2 shown]
	v_dual_dot2acc_f32_f16 v4, v95, v71 :: v_dual_mov_b32 v65, 0
	v_dot2acc_f32_f16 v6, v95, v20
	v_dot2acc_f32_f16 v18, v94, v70
	v_pk_fma_f16 v70, v100, v44, v54
	v_pk_fma_f16 v95, v102, v46, v55
	;; [unrolled: 1-line block ×3, first 2 shown]
	v_dual_mov_b32 v90, 0 :: v_dual_mov_b32 v93, 0
	s_delay_alu instid0(VALU_DEP_4)
	v_dual_dot2acc_f32_f16 v14, v70, v20 :: v_dual_mov_b32 v19, 0
	v_dual_mov_b32 v94, 0 :: v_dual_dot2acc_f32_f16 v15, v70, v71
	v_dot2acc_f32_f16 v16, v95, v20
	v_dual_mov_b32 v70, 0 :: v_dual_dot2acc_f32_f16 v17, v95, v71
	v_dot2acc_f32_f16 v74, v96, v20
	v_and_or_b32 v95, v68, s18, 0x64006400
	v_pk_fma_f16 v87, v87, v41, v49
	v_dot2acc_f32_f16 v18, v96, v71
	v_and_or_b32 v20, v69, s18, 0x64006400
	v_pk_fma_f16 v71, v76, v42, v52
	v_pk_fma_f16 v77, v77, v45, v50
	v_dot2acc_f32_f16 v85, v87, v78
	v_pk_fma_f16 v86, v86, v47, v51
	v_and_or_b32 v68, v68, s19, 0x64006400
	v_and_or_b32 v69, v69, s19, 0x64006400
	s_waitcnt lgkmcnt(0)
	v_dual_dot2acc_f32_f16 v88, v87, v0 :: v_dual_dot2acc_f32_f16 v93, v77, v78
	v_and_or_b32 v76, v67, s18, 0x64006400
	v_dual_dot2acc_f32_f16 v90, v71, v78 :: v_dual_dot2acc_f32_f16 v19, v77, v0
	v_dual_dot2acc_f32_f16 v65, v71, v0 :: v_dual_dot2acc_f32_f16 v94, v86, v78
	v_and_or_b32 v71, v66, s18, 0x64006400
	v_pk_fma_f16 v87, v95, v41, v49
	v_pk_fma_f16 v20, v20, v42, v52
	v_dual_dot2acc_f32_f16 v70, v86, v0 :: v_dual_add_f32 v35, v59, v35
	v_and_or_b32 v0, v75, s18, 0x64006400
	v_pk_fma_f16 v78, v82, v44, v54
	v_dual_add_f32 v34, v34, v58 :: v_dual_add_f32 v33, v57, v33
	v_and_or_b32 v58, v84, s18, 0x64006400
	v_pk_fma_f16 v83, v83, v46, v55
	v_and_or_b32 v67, v67, s19, 0x64006400
	v_and_or_b32 v66, v66, s19, 0x64006400
	v_pk_fma_f16 v68, v68, v43, v53
	v_pk_fma_f16 v69, v69, v44, v54
	;; [unrolled: 1-line block ×4, first 2 shown]
	v_and_or_b32 v77, v23, s18, 0x64006400
	v_pk_fma_f16 v89, v89, v43, v53
	v_and_or_b32 v75, v75, s19, 0x64006400
	v_and_or_b32 v82, v84, s19, 0x64006400
	;; [unrolled: 1-line block ×3, first 2 shown]
	v_pk_fma_f16 v86, v91, v48, v56
	v_pk_fma_f16 v0, v0, v42, v52
	;; [unrolled: 1-line block ×3, first 2 shown]
	v_dual_add_f32 v32, v60, v32 :: v_dual_add_f32 v29, v62, v29
	v_dual_add_f32 v30, v30, v61 :: v_dual_add_f32 v31, v64, v31
	v_dual_add_f32 v28, v63, v28 :: v_dual_dot2acc_f32_f16 v85, v89, v79
	v_dual_dot2acc_f32_f16 v4, v87, v72 :: v_dual_dot2acc_f32_f16 v65, v78, v1
	v_dual_dot2acc_f32_f16 v6, v87, v21 :: v_dual_dot2acc_f32_f16 v15, v20, v72
	;; [unrolled: 1-line block ×4, first 2 shown]
	v_pk_fma_f16 v67, v67, v46, v55
	v_pk_fma_f16 v66, v66, v48, v56
	v_and_or_b32 v23, v23, s19, 0x64006400
	v_and_or_b32 v84, v92, s19, 0x64006400
	v_pk_fma_f16 v77, v77, v41, v49
	v_pk_fma_f16 v75, v75, v44, v54
	;; [unrolled: 1-line block ×4, first 2 shown]
	v_dual_dot2acc_f32_f16 v17, v76, v72 :: v_dual_dot2acc_f32_f16 v74, v71, v21
	v_dot2acc_f32_f16 v18, v71, v72
	v_dot2acc_f32_f16 v16, v76, v21
	;; [unrolled: 1-line block ×5, first 2 shown]
	v_add_f32_e32 v1, v34, v5
	v_add_f32_e32 v5, v7, v35
	v_dual_add_f32 v7, v8, v33 :: v_dual_add_f32 v8, v9, v32
	v_dot2acc_f32_f16 v17, v67, v73
	v_dual_add_f32 v9, v30, v10 :: v_dual_add_f32 v10, v11, v29
	v_dot2acc_f32_f16 v85, v77, v80
	v_dual_add_f32 v11, v12, v28 :: v_dual_add_f32 v12, v13, v31
	v_dual_dot2acc_f32_f16 v93, v58, v80 :: v_dual_dot2acc_f32_f16 v4, v68, v73
	v_dot2acc_f32_f16 v19, v58, v2
	v_dual_dot2acc_f32_f16 v15, v69, v73 :: v_dual_dot2acc_f32_f16 v6, v68, v22
	v_dot2acc_f32_f16 v90, v0, v80
	v_pk_fma_f16 v23, v23, v43, v53
	v_pk_fma_f16 v84, v84, v48, v56
	v_dual_dot2acc_f32_f16 v18, v66, v73 :: v_dual_dot2acc_f32_f16 v65, v0, v2
	v_dot2acc_f32_f16 v14, v69, v22
	v_dual_dot2acc_f32_f16 v16, v67, v22 :: v_dual_dot2acc_f32_f16 v93, v82, v81
	v_dot2acc_f32_f16 v74, v66, v22
	v_dual_dot2acc_f32_f16 v94, v59, v80 :: v_dual_dot2acc_f32_f16 v19, v82, v3
	v_dual_dot2acc_f32_f16 v88, v77, v2 :: v_dual_dot2acc_f32_f16 v85, v23, v81
	v_dual_add_f32 v0, v1, v4 :: v_dual_dot2acc_f32_f16 v65, v75, v3
	v_add_f32_e32 v1, v15, v5
	v_dual_add_f32 v5, v9, v6 :: v_dual_dot2acc_f32_f16 v90, v75, v81
	v_dot2acc_f32_f16 v70, v59, v2
	v_add_f32_e32 v6, v14, v10
	v_dot2acc_f32_f16 v94, v84, v81
	s_delay_alu instid0(VALU_DEP_4) | instskip(NEXT) | instid1(VALU_DEP_4)
	v_dual_dot2acc_f32_f16 v88, v23, v3 :: v_dual_add_f32 v35, v90, v1
	v_dot2acc_f32_f16 v70, v84, v3
	v_add_f32_e32 v2, v17, v7
	v_dual_add_f32 v4, v18, v8 :: v_dual_add_f32 v7, v16, v11
	v_dual_add_f32 v8, v74, v12 :: v_dual_add_f32 v29, v65, v6
	v_add_f32_e32 v34, v0, v85
	v_add_f32_e32 v30, v5, v88
	s_delay_alu instid0(VALU_DEP_3)
	v_dual_add_f32 v28, v19, v7 :: v_dual_add_f32 v31, v70, v8
	v_dual_add_f32 v33, v93, v2 :: v_dual_add_f32 v32, v94, v4
	s_cbranch_scc1 .LBB1_17
.LBB1_15:                               ; =>This Inner Loop Header: Depth=1
	s_cmp_lg_u32 s28, s9
	s_cbranch_scc1 .LBB1_14
; %bb.16:                               ;   in Loop: Header=BB1_15 Depth=1
	s_add_i32 s20, s20, 1
	s_add_i32 s9, s9, s13
	s_mul_i32 s22, s20, s14
	s_mul_i32 s30, s20, s5
	s_ashr_i32 s23, s22, 31
	s_ashr_i32 s31, s30, 31
	s_lshl_b64 s[22:23], s[22:23], 2
	s_delay_alu instid0(SALU_CYCLE_1) | instskip(SKIP_2) | instid1(SALU_CYCLE_1)
	v_add_co_u32 v0, vcc_lo, v39, s22
	v_add_co_ci_u32_e32 v1, vcc_lo, s23, v40, vcc_lo
	s_lshl_b64 s[22:23], s[30:31], 1
	v_add_co_u32 v2, vcc_lo, v37, s22
	v_add_co_ci_u32_e32 v3, vcc_lo, s23, v38, vcc_lo
	global_load_b32 v4, v[0:1], off
	global_load_b64 v[0:1], v[2:3], off
	s_waitcnt vmcnt(1)
	v_lshrrev_b32_e32 v2, v36, v4
	v_bfe_u32 v3, v4, v36, 4
	s_waitcnt vmcnt(0)
	v_alignbit_b32 v4, s0, v0, 16
	v_alignbit_b32 v5, s0, v1, 16
	v_perm_b32 v41, v0, v0, 0x5040100
	v_bfe_u32 v6, v2, 4, 4
	v_add_nc_u32_e32 v3, 1, v3
	v_bfe_u32 v7, v2, 8, 4
	v_bfe_u32 v2, v2, 12, 4
	v_pk_mul_f16 v43, 0x2c00, v0 op_sel_hi:[0,0]
	v_add_nc_u32_e32 v6, 1, v6
	v_cvt_f32_ubyte0_e32 v8, v3
	v_or_b32_e32 v3, 0xffffe400, v3
	v_add_nc_u32_e32 v7, 1, v7
	v_add_nc_u32_e32 v2, 1, v2
	v_or_b32_e32 v9, 0xffffe400, v6
	v_cvt_f32_ubyte0_e32 v6, v6
	v_pk_mul_f16 v3, v0, v3
	v_or_b32_e32 v10, 0xffffe400, v7
	v_cvt_f32_ubyte0_e32 v7, v7
	v_or_b32_e32 v11, 0xffffe400, v2
	v_cvt_f32_ubyte0_e32 v2, v2
	v_cvt_f16_f32_e32 v8, v8
	v_pack_b32_f16 v49, v3, v3
	v_cvt_f16_f32_e32 v3, v6
	v_cvt_f16_f32_e32 v7, v7
	;; [unrolled: 1-line block ×3, first 2 shown]
	v_sub_f16_e32 v8, 0xd400, v8
	v_perm_b32 v42, v0, v0, 0x7060302
	v_sub_f16_e32 v3, 0xd400, v3
	v_sub_f16_e32 v7, 0xd400, v7
	;; [unrolled: 1-line block ×3, first 2 shown]
	v_pk_mul_f16 v44, 0x2c00, v0 op_sel:[0,1] op_sel_hi:[0,1]
	v_pk_mul_f16 v6, v4, v9
	v_pk_mul_f16 v9, v1, v10
	;; [unrolled: 1-line block ×7, first 2 shown]
	v_perm_b32 v45, v1, v1, 0x5040100
	v_pk_mul_f16 v46, 0x2c00, v1 op_sel_hi:[0,0]
	v_perm_b32 v47, v1, v1, 0x7060302
	v_pack_b32_f16 v52, v6, v6
	v_pack_b32_f16 v50, v9, v9
	;; [unrolled: 1-line block ×7, first 2 shown]
	v_pk_mul_f16 v48, 0x2c00, v1 op_sel:[0,1] op_sel_hi:[0,1]
	s_branch .LBB1_14
.LBB1_17:
	s_bitcmp1_b32 s2, 0
	v_add_co_u32 v6, vcc_lo, s16, v24
	s_cselect_b32 s2, -1, 0
	s_cmp_lg_u64 s[24:25], 0
	v_add_co_ci_u32_e32 v7, vcc_lo, s17, v25, vcc_lo
	s_cselect_b32 s5, -1, 0
	s_delay_alu instid0(SALU_CYCLE_1) | instskip(SKIP_4) | instid1(SALU_CYCLE_1)
	s_and_b32 s5, s5, s2
	s_cmp_gt_i32 s3, 0
	v_cndmask_b32_e64 v0, 0, 1, s5
	s_cselect_b32 s2, -1, 0
	s_ashr_i32 s13, s12, 31
	s_lshl_b64 s[6:7], s[12:13], 2
	s_delay_alu instid0(VALU_DEP_1)
	v_cmp_ne_u32_e32 vcc_lo, 1, v0
	s_add_u32 s6, s26, s6
	s_addc_u32 s7, s27, s7
	s_abs_i32 s9, s8
	s_load_b32 s10, s[6:7], 0x0
	v_cvt_f32_u32_e32 v1, s9
	s_sub_i32 s11, 0, s9
	s_ashr_i32 s8, s8, 31
	s_delay_alu instid0(VALU_DEP_1) | instskip(SKIP_4) | instid1(VALU_DEP_1)
	v_rcp_iflag_f32_e32 v1, v1
	s_waitcnt_depctr 0xfff
	v_mul_f32_e32 v1, 0x4f7ffffe, v1
	s_waitcnt lgkmcnt(0)
	s_abs_i32 s13, s10
	v_cvt_u32_f32_e32 v1, v1
	s_delay_alu instid0(VALU_DEP_1) | instskip(NEXT) | instid1(VALU_DEP_1)
	v_readfirstlane_b32 s12, v1
	s_mul_i32 s11, s11, s12
	s_delay_alu instid0(SALU_CYCLE_1) | instskip(NEXT) | instid1(SALU_CYCLE_1)
	s_mul_hi_u32 s11, s12, s11
	s_add_i32 s12, s12, s11
	s_ashr_i32 s11, s10, 31
	s_mul_hi_u32 s14, s13, s12
	s_xor_b32 s18, s11, s8
	s_mul_i32 s15, s14, s9
	s_add_i32 s19, s14, 1
	s_sub_i32 s15, s13, s15
	s_delay_alu instid0(SALU_CYCLE_1)
	s_sub_i32 s20, s15, s9
	s_cmp_ge_u32 s15, s9
	s_cselect_b32 s14, s19, s14
	s_cselect_b32 s15, s20, s15
	s_add_i32 s19, s14, 1
	s_cmp_ge_u32 s15, s9
	s_cselect_b32 s14, s19, s14
	s_delay_alu instid0(SALU_CYCLE_1) | instskip(NEXT) | instid1(SALU_CYCLE_1)
	s_xor_b32 s14, s14, s18
	s_sub_i32 s14, s14, s18
	s_delay_alu instid0(SALU_CYCLE_1)
	s_cmp_lt_i32 s14, s4
	s_cbranch_scc0 .LBB1_25
; %bb.18:
	s_and_b32 vcc_lo, exec_lo, vcc_lo
	s_cbranch_vccnz .LBB1_20
; %bb.19:
	s_lshl_b64 s[14:15], s[10:11], 2
	s_delay_alu instid0(SALU_CYCLE_1)
	s_add_u32 s14, s24, s14
	s_addc_u32 s15, s25, s15
	s_load_b32 s14, s[14:15], 0x0
	s_waitcnt lgkmcnt(0)
	v_dual_mul_f32 v34, s14, v34 :: v_dual_mul_f32 v35, s14, v35
	v_dual_mul_f32 v33, s14, v33 :: v_dual_mul_f32 v32, s14, v32
.LBB1_20:
	s_and_not1_b32 vcc_lo, exec_lo, s2
	s_cbranch_vccnz .LBB1_22
; %bb.21:
	s_abs_i32 s10, s3
	s_delay_alu instid0(SALU_CYCLE_1) | instskip(SKIP_1) | instid1(VALU_DEP_1)
	v_cvt_f32_u32_e32 v0, s10
	s_sub_i32 s15, 0, s10
	v_rcp_iflag_f32_e32 v0, v0
	s_waitcnt_depctr 0xfff
	v_mul_f32_e32 v0, 0x4f7ffffe, v0
	s_delay_alu instid0(VALU_DEP_1) | instskip(NEXT) | instid1(VALU_DEP_1)
	v_cvt_u32_f32_e32 v0, v0
	v_readfirstlane_b32 s14, v0
	s_delay_alu instid0(VALU_DEP_1) | instskip(NEXT) | instid1(SALU_CYCLE_1)
	s_mul_i32 s15, s15, s14
	s_mul_hi_u32 s15, s14, s15
	s_delay_alu instid0(SALU_CYCLE_1)
	s_add_i32 s14, s14, s15
	s_ashr_i32 s15, s3, 31
	s_mul_hi_u32 s14, s13, s14
	s_xor_b32 s11, s11, s15
	s_mul_i32 s16, s14, s10
	s_add_i32 s15, s14, 1
	s_sub_i32 s13, s13, s16
	s_delay_alu instid0(SALU_CYCLE_1)
	s_sub_i32 s16, s13, s10
	s_cmp_ge_u32 s13, s10
	s_cselect_b32 s14, s15, s14
	s_cselect_b32 s13, s16, s13
	s_add_i32 s15, s14, 1
	s_cmp_ge_u32 s13, s10
	s_cselect_b32 s10, s15, s14
	s_delay_alu instid0(SALU_CYCLE_1) | instskip(NEXT) | instid1(SALU_CYCLE_1)
	s_xor_b32 s10, s10, s11
	s_sub_i32 s10, s10, s11
.LBB1_22:
	s_delay_alu instid0(SALU_CYCLE_1)
	s_ashr_i32 s11, s10, 31
	s_mul_hi_u32 s13, s0, s10
	s_mul_i32 s11, s0, s11
	s_mul_i32 s14, s1, s10
	s_add_i32 s11, s13, s11
	s_mul_i32 s10, s0, s10
	s_add_i32 s11, s11, s14
	v_cvt_f16_f32_e32 v0, v34
	s_lshl_b64 s[10:11], s[10:11], 1
	v_cvt_f16_f32_e32 v1, v35
	v_add_co_u32 v4, vcc_lo, v6, s10
	v_add_co_ci_u32_e32 v5, vcc_lo, s11, v7, vcc_lo
	v_cvt_f16_f32_e32 v9, v33
	v_cvt_f16_f32_e32 v10, v32
	v_pack_b32_f16 v8, v0, v1
	global_load_b64 v[2:3], v[4:5], off
	s_mov_b32 s10, 0
	v_pack_b32_f16 v9, v9, v10
.LBB1_23:                               ; =>This Inner Loop Header: Depth=1
	s_waitcnt vmcnt(0)
	v_pk_add_f16 v0, v8, v2
	s_delay_alu instid0(VALU_DEP_2)
	v_pk_add_f16 v1, v9, v3
	global_atomic_cmpswap_b64 v[0:1], v[4:5], v[0:3], off glc
	s_waitcnt vmcnt(0)
	v_cmp_eq_u64_e32 vcc_lo, v[0:1], v[2:3]
	v_dual_mov_b32 v3, v1 :: v_dual_mov_b32 v2, v0
	s_or_b32 s10, vcc_lo, s10
	s_delay_alu instid0(SALU_CYCLE_1)
	s_and_not1_b32 exec_lo, exec_lo, s10
	s_cbranch_execnz .LBB1_23
; %bb.24:
	s_or_b32 exec_lo, exec_lo, s10
.LBB1_25:
	s_load_b32 s6, s[6:7], 0x4
	s_waitcnt lgkmcnt(0)
	s_abs_i32 s10, s6
	s_ashr_i32 s7, s6, 31
	s_mul_hi_u32 s11, s10, s12
	s_xor_b32 s8, s7, s8
	s_mul_i32 s12, s11, s9
	s_add_i32 s13, s11, 1
	s_sub_i32 s12, s10, s12
	s_delay_alu instid0(SALU_CYCLE_1)
	s_sub_i32 s14, s12, s9
	s_cmp_ge_u32 s12, s9
	s_cselect_b32 s11, s13, s11
	s_cselect_b32 s12, s14, s12
	s_add_i32 s13, s11, 1
	s_cmp_ge_u32 s12, s9
	s_cselect_b32 s9, s13, s11
	s_delay_alu instid0(SALU_CYCLE_1) | instskip(NEXT) | instid1(SALU_CYCLE_1)
	s_xor_b32 s9, s9, s8
	s_sub_i32 s8, s9, s8
	s_delay_alu instid0(SALU_CYCLE_1)
	s_cmp_ge_i32 s8, s4
	s_cbranch_scc1 .LBB1_32
; %bb.26:
	s_and_not1_b32 vcc_lo, exec_lo, s5
	s_cbranch_vccnz .LBB1_28
; %bb.27:
	s_lshl_b64 s[4:5], s[6:7], 2
	s_delay_alu instid0(SALU_CYCLE_1)
	s_add_u32 s4, s24, s4
	s_addc_u32 s5, s25, s5
	s_load_b32 s4, s[4:5], 0x0
	s_waitcnt lgkmcnt(0)
	v_dual_mul_f32 v30, s4, v30 :: v_dual_mul_f32 v29, s4, v29
	v_dual_mul_f32 v28, s4, v28 :: v_dual_mul_f32 v31, s4, v31
.LBB1_28:
	s_and_not1_b32 vcc_lo, exec_lo, s2
	s_cbranch_vccnz .LBB1_30
; %bb.29:
	s_abs_i32 s2, s3
	s_ashr_i32 s3, s3, 31
	v_cvt_f32_u32_e32 v0, s2
	s_sub_i32 s5, 0, s2
	s_xor_b32 s3, s7, s3
	s_delay_alu instid0(VALU_DEP_1) | instskip(SKIP_2) | instid1(VALU_DEP_1)
	v_rcp_iflag_f32_e32 v0, v0
	s_waitcnt_depctr 0xfff
	v_mul_f32_e32 v0, 0x4f7ffffe, v0
	v_cvt_u32_f32_e32 v0, v0
	s_delay_alu instid0(VALU_DEP_1) | instskip(NEXT) | instid1(VALU_DEP_1)
	v_readfirstlane_b32 s4, v0
	s_mul_i32 s5, s5, s4
	s_delay_alu instid0(SALU_CYCLE_1) | instskip(NEXT) | instid1(SALU_CYCLE_1)
	s_mul_hi_u32 s5, s4, s5
	s_add_i32 s4, s4, s5
	s_delay_alu instid0(SALU_CYCLE_1) | instskip(NEXT) | instid1(SALU_CYCLE_1)
	s_mul_hi_u32 s4, s10, s4
	s_mul_i32 s5, s4, s2
	s_add_i32 s6, s4, 1
	s_sub_i32 s5, s10, s5
	s_delay_alu instid0(SALU_CYCLE_1)
	s_sub_i32 s7, s5, s2
	s_cmp_ge_u32 s5, s2
	s_cselect_b32 s4, s6, s4
	s_cselect_b32 s5, s7, s5
	s_add_i32 s6, s4, 1
	s_cmp_ge_u32 s5, s2
	s_cselect_b32 s2, s6, s4
	s_delay_alu instid0(SALU_CYCLE_1) | instskip(NEXT) | instid1(SALU_CYCLE_1)
	s_xor_b32 s2, s2, s3
	s_sub_i32 s6, s2, s3
.LBB1_30:
	s_delay_alu instid0(SALU_CYCLE_1)
	s_ashr_i32 s2, s6, 31
	s_mul_hi_u32 s3, s0, s6
	s_mul_i32 s2, s0, s2
	s_mul_i32 s1, s1, s6
	s_add_i32 s2, s3, s2
	s_mul_i32 s0, s0, s6
	s_add_i32 s1, s2, s1
	v_cvt_f16_f32_e32 v0, v30
	s_lshl_b64 s[0:1], s[0:1], 1
	v_cvt_f16_f32_e32 v1, v29
	v_add_co_u32 v4, vcc_lo, v6, s0
	v_add_co_ci_u32_e32 v5, vcc_lo, s1, v7, vcc_lo
	v_cvt_f16_f32_e32 v7, v28
	v_cvt_f16_f32_e32 v8, v31
	v_pack_b32_f16 v6, v0, v1
	global_load_b64 v[2:3], v[4:5], off
	s_mov_b32 s0, 0
	v_pack_b32_f16 v7, v7, v8
.LBB1_31:                               ; =>This Inner Loop Header: Depth=1
	s_waitcnt vmcnt(0)
	v_pk_add_f16 v0, v6, v2
	s_delay_alu instid0(VALU_DEP_2)
	v_pk_add_f16 v1, v7, v3
	global_atomic_cmpswap_b64 v[0:1], v[4:5], v[0:3], off glc
	s_waitcnt vmcnt(0)
	v_cmp_eq_u64_e32 vcc_lo, v[0:1], v[2:3]
	v_dual_mov_b32 v3, v1 :: v_dual_mov_b32 v2, v0
	s_or_b32 s0, vcc_lo, s0
	s_delay_alu instid0(SALU_CYCLE_1)
	s_and_not1_b32 exec_lo, exec_lo, s0
	s_cbranch_execnz .LBB1_31
.LBB1_32:
	s_endpgm
	.section	.rodata,"a",@progbits
	.p2align	6, 0x0
	.amdhsa_kernel _ZN4vllm14moe_gptq_rdna324moe_gemm_q4_kernel_rdna3I6__halfLi2EEEvPKT_PS3_PKjS5_S8_PKfPKiSC_SC_iiiiiiiibi
		.amdhsa_group_segment_fixed_size 1056
		.amdhsa_private_segment_fixed_size 0
		.amdhsa_kernarg_size 112
		.amdhsa_user_sgpr_count 13
		.amdhsa_user_sgpr_dispatch_ptr 0
		.amdhsa_user_sgpr_queue_ptr 0
		.amdhsa_user_sgpr_kernarg_segment_ptr 1
		.amdhsa_user_sgpr_dispatch_id 0
		.amdhsa_user_sgpr_private_segment_size 0
		.amdhsa_wavefront_size32 1
		.amdhsa_uses_dynamic_stack 0
		.amdhsa_enable_private_segment 0
		.amdhsa_system_sgpr_workgroup_id_x 1
		.amdhsa_system_sgpr_workgroup_id_y 1
		.amdhsa_system_sgpr_workgroup_id_z 1
		.amdhsa_system_sgpr_workgroup_info 0
		.amdhsa_system_vgpr_workitem_id 0
		.amdhsa_next_free_vgpr 110
		.amdhsa_next_free_sgpr 41
		.amdhsa_reserve_vcc 1
		.amdhsa_float_round_mode_32 0
		.amdhsa_float_round_mode_16_64 0
		.amdhsa_float_denorm_mode_32 3
		.amdhsa_float_denorm_mode_16_64 3
		.amdhsa_dx10_clamp 1
		.amdhsa_ieee_mode 1
		.amdhsa_fp16_overflow 0
		.amdhsa_workgroup_processor_mode 1
		.amdhsa_memory_ordered 1
		.amdhsa_forward_progress 0
		.amdhsa_shared_vgpr_count 0
		.amdhsa_exception_fp_ieee_invalid_op 0
		.amdhsa_exception_fp_denorm_src 0
		.amdhsa_exception_fp_ieee_div_zero 0
		.amdhsa_exception_fp_ieee_overflow 0
		.amdhsa_exception_fp_ieee_underflow 0
		.amdhsa_exception_fp_ieee_inexact 0
		.amdhsa_exception_int_div_zero 0
	.end_amdhsa_kernel
	.section	.text._ZN4vllm14moe_gptq_rdna324moe_gemm_q4_kernel_rdna3I6__halfLi2EEEvPKT_PS3_PKjS5_S8_PKfPKiSC_SC_iiiiiiiibi,"axG",@progbits,_ZN4vllm14moe_gptq_rdna324moe_gemm_q4_kernel_rdna3I6__halfLi2EEEvPKT_PS3_PKjS5_S8_PKfPKiSC_SC_iiiiiiiibi,comdat
.Lfunc_end1:
	.size	_ZN4vllm14moe_gptq_rdna324moe_gemm_q4_kernel_rdna3I6__halfLi2EEEvPKT_PS3_PKjS5_S8_PKfPKiSC_SC_iiiiiiiibi, .Lfunc_end1-_ZN4vllm14moe_gptq_rdna324moe_gemm_q4_kernel_rdna3I6__halfLi2EEEvPKT_PS3_PKjS5_S8_PKfPKiSC_SC_iiiiiiiibi
                                        ; -- End function
	.section	.AMDGPU.csdata,"",@progbits
; Kernel info:
; codeLenInByte = 5620
; NumSgprs: 43
; NumVgprs: 110
; ScratchSize: 0
; MemoryBound: 0
; FloatMode: 240
; IeeeMode: 1
; LDSByteSize: 1056 bytes/workgroup (compile time only)
; SGPRBlocks: 5
; VGPRBlocks: 13
; NumSGPRsForWavesPerEU: 43
; NumVGPRsForWavesPerEU: 110
; Occupancy: 12
; WaveLimiterHint : 1
; COMPUTE_PGM_RSRC2:SCRATCH_EN: 0
; COMPUTE_PGM_RSRC2:USER_SGPR: 13
; COMPUTE_PGM_RSRC2:TRAP_HANDLER: 0
; COMPUTE_PGM_RSRC2:TGID_X_EN: 1
; COMPUTE_PGM_RSRC2:TGID_Y_EN: 1
; COMPUTE_PGM_RSRC2:TGID_Z_EN: 1
; COMPUTE_PGM_RSRC2:TIDIG_COMP_CNT: 0
	.section	.text._ZN4vllm14moe_gptq_rdna324moe_gemm_q4_kernel_rdna3I6__halfLi4EEEvPKT_PS3_PKjS5_S8_PKfPKiSC_SC_iiiiiiiibi,"axG",@progbits,_ZN4vllm14moe_gptq_rdna324moe_gemm_q4_kernel_rdna3I6__halfLi4EEEvPKT_PS3_PKjS5_S8_PKfPKiSC_SC_iiiiiiiibi,comdat
	.protected	_ZN4vllm14moe_gptq_rdna324moe_gemm_q4_kernel_rdna3I6__halfLi4EEEvPKT_PS3_PKjS5_S8_PKfPKiSC_SC_iiiiiiiibi ; -- Begin function _ZN4vllm14moe_gptq_rdna324moe_gemm_q4_kernel_rdna3I6__halfLi4EEEvPKT_PS3_PKjS5_S8_PKfPKiSC_SC_iiiiiiiibi
	.globl	_ZN4vllm14moe_gptq_rdna324moe_gemm_q4_kernel_rdna3I6__halfLi4EEEvPKT_PS3_PKjS5_S8_PKfPKiSC_SC_iiiiiiiibi
	.p2align	8
	.type	_ZN4vllm14moe_gptq_rdna324moe_gemm_q4_kernel_rdna3I6__halfLi4EEEvPKT_PS3_PKjS5_S8_PKfPKiSC_SC_iiiiiiiibi,@function
_ZN4vllm14moe_gptq_rdna324moe_gemm_q4_kernel_rdna3I6__halfLi4EEEvPKT_PS3_PKjS5_S8_PKfPKiSC_SC_iiiiiiiibi: ; @_ZN4vllm14moe_gptq_rdna324moe_gemm_q4_kernel_rdna3I6__halfLi4EEEvPKT_PS3_PKjS5_S8_PKfPKiSC_SC_iiiiiiiibi
; %bb.0:
	s_load_b64 s[4:5], s[0:1], 0x40
	s_lshl_b32 s12, s13, 2
	s_waitcnt lgkmcnt(0)
	s_load_b32 s3, s[4:5], 0x0
	s_waitcnt lgkmcnt(0)
	s_cmp_ge_i32 s12, s3
	s_cbranch_scc1 .LBB2_52
; %bb.1:
	s_load_b64 s[4:5], s[0:1], 0x38
	s_mov_b32 s2, s13
	s_ashr_i32 s3, s13, 31
	s_delay_alu instid0(SALU_CYCLE_1)
	s_lshl_b64 s[2:3], s[2:3], 2
	s_waitcnt lgkmcnt(0)
	s_add_u32 s2, s4, s2
	s_addc_u32 s3, s5, s3
	s_load_b32 s30, s[2:3], 0x0
	s_waitcnt lgkmcnt(0)
	s_cmp_eq_u32 s30, -1
	s_cbranch_scc1 .LBB2_52
; %bb.2:
	s_clause 0x3
	s_load_b256 s[4:11], s[0:1], 0x48
	s_load_b256 s[16:23], s[0:1], 0x8
	s_load_b128 s[24:27], s[0:1], 0x28
	s_load_b64 s[2:3], s[0:1], 0x68
	s_lshl_b32 s28, s15, 8
	s_mov_b32 s31, exec_lo
	v_add_nc_u32_e32 v1, s28, v0
	s_add_i32 s13, s28, 0x100
	s_waitcnt lgkmcnt(0)
	s_min_i32 s15, s13, s6
	s_delay_alu instid0(VALU_DEP_1) | instid1(SALU_CYCLE_1)
	v_cmpx_gt_i32_e64 s15, v1
	s_cbranch_execz .LBB2_12
; %bb.3:
	s_load_b64 s[0:1], s[0:1], 0x0
	s_ashr_i32 s29, s28, 31
	v_mov_b32_e32 v5, 0
	s_lshl_b64 s[34:35], s[28:29], 1
	v_mov_b32_e32 v4, 0
	s_waitcnt lgkmcnt(0)
	s_add_u32 s34, s0, s34
	s_addc_u32 s35, s1, s35
	s_ashr_i32 s13, s12, 31
	s_delay_alu instid0(SALU_CYCLE_1) | instskip(NEXT) | instid1(SALU_CYCLE_1)
	s_lshl_b64 s[0:1], s[12:13], 2
	s_add_u32 s0, s26, s0
	s_addc_u32 s1, s27, s1
	s_abs_i32 s13, s8
	s_load_b32 s36, s[0:1], 0x0
	v_cvt_f32_u32_e32 v1, s13
	s_sub_i32 s29, 0, s13
	s_delay_alu instid0(VALU_DEP_1) | instskip(SKIP_4) | instid1(VALU_DEP_1)
	v_rcp_iflag_f32_e32 v1, v1
	s_waitcnt_depctr 0xfff
	v_mul_f32_e32 v1, 0x4f7ffffe, v1
	s_waitcnt lgkmcnt(0)
	s_abs_i32 s37, s36
	v_cvt_u32_f32_e32 v1, v1
	s_ashr_i32 s36, s36, 31
	s_delay_alu instid0(VALU_DEP_1) | instskip(SKIP_1) | instid1(VALU_DEP_2)
	v_readfirstlane_b32 s33, v1
	v_lshlrev_b32_e32 v1, 1, v0
	s_mul_i32 s29, s29, s33
	s_delay_alu instid0(VALU_DEP_1)
	v_add_co_u32 v2, s34, s34, v1
	s_mul_hi_u32 s29, s33, s29
	v_add_co_ci_u32_e64 v3, null, s35, 0, s34
	s_add_i32 s33, s33, s29
	s_ashr_i32 s29, s8, 31
	s_mul_hi_u32 s38, s37, s33
	s_xor_b32 s36, s36, s29
	s_mul_i32 s39, s38, s13
	s_delay_alu instid0(SALU_CYCLE_1)
	s_sub_i32 s37, s37, s39
	s_add_i32 s39, s38, 1
	s_sub_i32 s40, s37, s13
	s_cmp_ge_u32 s37, s13
	s_cselect_b32 s38, s39, s38
	s_cselect_b32 s37, s40, s37
	s_add_i32 s39, s38, 1
	s_cmp_ge_u32 s37, s13
	s_cselect_b32 s37, s39, s38
	s_delay_alu instid0(SALU_CYCLE_1) | instskip(NEXT) | instid1(SALU_CYCLE_1)
	s_xor_b32 s37, s37, s36
	s_sub_i32 s34, s37, s36
	s_delay_alu instid0(SALU_CYCLE_1)
	s_cmp_ge_i32 s34, s4
	s_cbranch_scc1 .LBB2_5
; %bb.4:
	s_mul_hi_i32 s35, s34, s6
	s_mul_i32 s34, s34, s6
	s_delay_alu instid0(SALU_CYCLE_1) | instskip(NEXT) | instid1(SALU_CYCLE_1)
	s_lshl_b64 s[34:35], s[34:35], 1
	v_add_co_u32 v5, vcc_lo, v2, s34
	v_add_co_ci_u32_e32 v6, vcc_lo, s35, v3, vcc_lo
	global_load_u16 v5, v[5:6], off
.LBB2_5:
	s_load_b32 s34, s[0:1], 0x4
	s_waitcnt vmcnt(0)
	ds_store_b16 v1, v5
	s_waitcnt lgkmcnt(0)
	s_abs_i32 s35, s34
	s_ashr_i32 s34, s34, 31
	s_mul_hi_u32 s36, s35, s33
	s_xor_b32 s34, s34, s29
	s_mul_i32 s37, s36, s13
	s_delay_alu instid0(SALU_CYCLE_1)
	s_sub_i32 s35, s35, s37
	s_add_i32 s37, s36, 1
	s_sub_i32 s38, s35, s13
	s_cmp_ge_u32 s35, s13
	s_cselect_b32 s36, s37, s36
	s_cselect_b32 s35, s38, s35
	s_add_i32 s37, s36, 1
	s_cmp_ge_u32 s35, s13
	s_cselect_b32 s35, s37, s36
	s_delay_alu instid0(SALU_CYCLE_1) | instskip(NEXT) | instid1(SALU_CYCLE_1)
	s_xor_b32 s35, s35, s34
	s_sub_i32 s34, s35, s34
	s_delay_alu instid0(SALU_CYCLE_1)
	s_cmp_ge_i32 s34, s4
	s_cbranch_scc1 .LBB2_7
; %bb.6:
	s_mul_hi_i32 s35, s34, s6
	s_mul_i32 s34, s34, s6
	s_delay_alu instid0(SALU_CYCLE_1) | instskip(NEXT) | instid1(SALU_CYCLE_1)
	s_lshl_b64 s[34:35], s[34:35], 1
	v_add_co_u32 v4, vcc_lo, v2, s34
	v_add_co_ci_u32_e32 v5, vcc_lo, s35, v3, vcc_lo
	global_load_u16 v4, v[4:5], off
.LBB2_7:
	s_load_b32 s34, s[0:1], 0x8
	v_dual_mov_b32 v5, 0 :: v_dual_mov_b32 v6, 0
	s_waitcnt vmcnt(0)
	ds_store_b16 v1, v4 offset:528
	s_waitcnt lgkmcnt(0)
	s_abs_i32 s35, s34
	s_ashr_i32 s34, s34, 31
	s_mul_hi_u32 s36, s35, s33
	s_xor_b32 s34, s34, s29
	s_mul_i32 s37, s36, s13
	s_delay_alu instid0(SALU_CYCLE_1)
	s_sub_i32 s35, s35, s37
	s_add_i32 s37, s36, 1
	s_sub_i32 s38, s35, s13
	s_cmp_ge_u32 s35, s13
	s_cselect_b32 s36, s37, s36
	s_cselect_b32 s35, s38, s35
	s_add_i32 s37, s36, 1
	s_cmp_ge_u32 s35, s13
	s_cselect_b32 s35, s37, s36
	s_delay_alu instid0(SALU_CYCLE_1) | instskip(NEXT) | instid1(SALU_CYCLE_1)
	s_xor_b32 s35, s35, s34
	s_sub_i32 s34, s35, s34
	s_delay_alu instid0(SALU_CYCLE_1)
	s_cmp_ge_i32 s34, s4
	s_cbranch_scc1 .LBB2_9
; %bb.8:
	s_mul_hi_i32 s35, s34, s6
	s_mul_i32 s34, s34, s6
	s_delay_alu instid0(SALU_CYCLE_1) | instskip(NEXT) | instid1(SALU_CYCLE_1)
	s_lshl_b64 s[34:35], s[34:35], 1
	v_add_co_u32 v6, vcc_lo, v2, s34
	v_add_co_ci_u32_e32 v7, vcc_lo, s35, v3, vcc_lo
	global_load_u16 v6, v[6:7], off
.LBB2_9:
	s_load_b32 s0, s[0:1], 0xc
	s_waitcnt vmcnt(0)
	ds_store_b16 v1, v6 offset:1056
	s_waitcnt lgkmcnt(0)
	s_abs_i32 s1, s0
	s_ashr_i32 s0, s0, 31
	s_mul_hi_u32 s33, s1, s33
	s_xor_b32 s0, s0, s29
	s_mul_i32 s34, s33, s13
	s_add_i32 s29, s33, 1
	s_sub_i32 s1, s1, s34
	s_delay_alu instid0(SALU_CYCLE_1)
	s_sub_i32 s34, s1, s13
	s_cmp_ge_u32 s1, s13
	s_cselect_b32 s29, s29, s33
	s_cselect_b32 s1, s34, s1
	s_add_i32 s33, s29, 1
	s_cmp_ge_u32 s1, s13
	s_cselect_b32 s1, s33, s29
	s_delay_alu instid0(SALU_CYCLE_1) | instskip(NEXT) | instid1(SALU_CYCLE_1)
	s_xor_b32 s1, s1, s0
	s_sub_i32 s0, s1, s0
	s_delay_alu instid0(SALU_CYCLE_1)
	s_cmp_ge_i32 s0, s4
	s_cbranch_scc1 .LBB2_11
; %bb.10:
	s_mul_hi_i32 s1, s0, s6
	s_mul_i32 s0, s0, s6
	s_delay_alu instid0(SALU_CYCLE_1) | instskip(NEXT) | instid1(SALU_CYCLE_1)
	s_lshl_b64 s[0:1], s[0:1], 1
	v_add_co_u32 v2, vcc_lo, v2, s0
	v_add_co_ci_u32_e32 v3, vcc_lo, s1, v3, vcc_lo
	global_load_u16 v5, v[2:3], off
.LBB2_11:
	s_waitcnt vmcnt(0)
	ds_store_b16 v1, v5 offset:1584
.LBB2_12:
	s_or_b32 exec_lo, exec_lo, s31
	v_lshlrev_b32_e32 v1, 2, v0
	s_waitcnt lgkmcnt(0)
	s_barrier
	buffer_gl0_inv
	s_mov_b32 s0, exec_lo
	v_lshl_add_u32 v1, s14, 10, v1
	s_delay_alu instid0(VALU_DEP_1)
	v_cmpx_gt_i32_e64 s5, v1
	s_cbranch_execz .LBB2_52
; %bb.13:
	s_abs_i32 s13, s7
	s_cmp_lt_i32 s28, s6
	v_cvt_f32_u32_e32 v2, s13
	s_mov_b32 s29, 0
	s_delay_alu instid0(VALU_DEP_1) | instskip(SKIP_2) | instid1(VALU_DEP_1)
	v_rcp_iflag_f32_e32 v2, v2
	s_waitcnt_depctr 0xfff
	v_mul_f32_e32 v2, 0x4f7ffffe, v2
	v_cvt_u32_f32_e32 v2, v2
	s_delay_alu instid0(VALU_DEP_1)
	v_readfirstlane_b32 s14, v2
	v_ashrrev_i32_e32 v2, 31, v1
	s_cbranch_scc1 .LBB2_15
; %bb.14:
	s_ashr_i32 s1, s5, 31
	s_mov_b32 s0, s5
	s_mov_b32 s31, 0
	s_branch .LBB2_16
.LBB2_15:
	s_mov_b32 s29, -1
                                        ; implicit-def: $sgpr31
                                        ; implicit-def: $sgpr0_sgpr1
.LBB2_16:
	s_delay_alu instid0(VALU_DEP_1)
	v_lshlrev_b64 v[16:17], 1, v[1:2]
	v_dual_mov_b32 v23, s31 :: v_dual_mov_b32 v22, s31
	v_dual_mov_b32 v24, s31 :: v_dual_mov_b32 v25, s31
	;; [unrolled: 1-line block ×7, first 2 shown]
	v_mov_b32_e32 v56, s31
	v_mov_b32_e32 v58, s31
	s_and_not1_b32 vcc_lo, exec_lo, s29
	s_cbranch_vccnz .LBB2_21
; %bb.17:
	s_sub_i32 s0, 0, s13
	s_mul_hi_i32 s1, s30, s10
	s_mul_i32 s0, s0, s14
	s_abs_i32 s29, s6
	s_mul_hi_u32 s31, s14, s0
	s_mul_i32 s0, s30, s10
	s_add_i32 s14, s14, s31
	s_lshl_b64 s[0:1], s[0:1], 1
	s_ashr_i32 s10, s6, 31
	s_ashr_i32 s31, s7, 31
	s_mul_hi_i32 s35, s30, s11
	s_mul_i32 s34, s30, s11
	s_add_u32 s6, s20, s0
	s_addc_u32 s7, s21, s1
	s_lshl_b64 s[0:1], s[34:35], 2
	s_mul_hi_u32 s11, s29, s14
	s_add_u32 s33, s22, s0
	s_mul_i32 s0, s11, s13
	s_addc_u32 s34, s23, s1
	s_sub_i32 s0, s29, s0
	s_xor_b32 s1, s10, s31
	s_add_i32 s10, s11, 1
	s_sub_i32 s14, s0, s13
	s_cmp_ge_u32 s0, s13
	v_lshrrev_b32_e32 v4, 29, v2
	s_cselect_b32 s10, s10, s11
	s_cselect_b32 s0, s14, s0
	s_add_i32 s11, s10, 1
	s_cmp_ge_u32 s0, s13
	v_dual_mov_b32 v55, 0 :: v_dual_mov_b32 v56, 0
	s_cselect_b32 s0, s11, s10
	s_abs_i32 s20, s28
	s_xor_b32 s0, s0, s1
	v_dual_mov_b32 v57, 0 :: v_dual_mov_b32 v46, 0
	s_sub_i32 s13, s0, s1
	s_ashr_i32 s1, s5, 31
	s_abs_i32 s0, s13
	s_lshr_b32 s14, s1, 29
	v_cvt_f32_u32_e32 v3, s0
	s_sub_i32 s11, 0, s0
	s_add_i32 s14, s5, s14
	v_dual_mov_b32 v47, 0 :: v_dual_mov_b32 v54, 0
	s_delay_alu instid0(VALU_DEP_2)
	v_rcp_iflag_f32_e32 v3, v3
	s_ashr_i32 s14, s14, 3
	v_dual_mov_b32 v50, 0 :: v_dual_mov_b32 v33, 0
	v_dual_mov_b32 v32, 0 :: v_dual_mov_b32 v31, 0
	;; [unrolled: 1-line block ×4, first 2 shown]
	s_waitcnt_depctr 0xfff
	v_mul_f32_e32 v3, 0x4f7ffffe, v3
	s_delay_alu instid0(VALU_DEP_1) | instskip(NEXT) | instid1(VALU_DEP_1)
	v_cvt_u32_f32_e32 v3, v3
	v_readfirstlane_b32 s10, v3
	v_add_nc_u32_e32 v3, v1, v4
	s_delay_alu instid0(VALU_DEP_2) | instskip(NEXT) | instid1(VALU_DEP_1)
	s_mul_i32 s11, s11, s10
	v_ashrrev_i32_e32 v3, 3, v3
	s_mul_hi_u32 s11, s10, s11
	s_delay_alu instid0(SALU_CYCLE_1)
	s_add_i32 s10, s10, s11
	s_xor_b32 s11, s28, s13
	s_mul_hi_u32 s10, s20, s10
	s_ashr_i32 s11, s11, 31
	s_mul_i32 s21, s10, s0
	v_ashrrev_i32_e32 v4, 31, v3
	s_sub_i32 s20, s20, s21
	s_add_i32 s21, s10, 1
	s_sub_i32 s22, s20, s0
	s_cmp_ge_u32 s20, s0
	v_lshlrev_b64 v[3:4], 2, v[3:4]
	s_cselect_b32 s10, s21, s10
	s_cselect_b32 s20, s22, s20
	s_add_i32 s21, s10, 1
	s_cmp_ge_u32 s20, s0
	s_cselect_b32 s0, s21, s10
	s_mov_b32 s21, 0
	s_xor_b32 s0, s0, s11
	s_delay_alu instid0(SALU_CYCLE_1) | instskip(NEXT) | instid1(SALU_CYCLE_1)
	s_sub_i32 s20, s0, s11
	s_mul_i32 s10, s20, s5
	s_mul_i32 s22, s20, s14
	s_ashr_i32 s11, s10, 31
	s_delay_alu instid0(SALU_CYCLE_1) | instskip(NEXT) | instid1(SALU_CYCLE_1)
	s_lshl_b64 s[10:11], s[10:11], 1
	s_add_u32 s0, s6, s10
	s_addc_u32 s10, s7, s11
	s_ashr_i32 s23, s22, 31
	v_add_co_u32 v5, vcc_lo, s0, v16
	v_add_co_ci_u32_e32 v6, vcc_lo, s10, v17, vcc_lo
	s_lshl_b64 s[10:11], s[22:23], 2
	s_delay_alu instid0(SALU_CYCLE_1)
	s_add_u32 s0, s33, s10
	s_addc_u32 s10, s34, s11
	v_add_co_u32 v7, vcc_lo, s0, v3
	v_add_co_ci_u32_e32 v8, vcc_lo, s10, v4, vcc_lo
	global_load_b64 v[5:6], v[5:6], off
	v_add_co_u32 v27, vcc_lo, s6, v16
	global_load_b32 v7, v[7:8], off
	v_lshlrev_b32_e32 v8, 4, v0
	v_lshlrev_b64 v[0:1], 2, v[1:2]
	v_add_co_ci_u32_e32 v28, vcc_lo, s7, v17, vcc_lo
	v_add_co_u32 v29, vcc_lo, s33, v3
	s_delay_alu instid0(VALU_DEP_4)
	v_and_b32_e32 v26, 16, v8
	v_add_co_ci_u32_e32 v30, vcc_lo, s34, v4, vcc_lo
	s_mul_hi_i32 s11, s30, s9
	s_mul_i32 s10, s30, s9
	s_ashr_i32 s9, s28, 3
	s_mov_b32 s0, s5
	s_mul_i32 s30, s9, s5
	s_add_i32 s23, s20, 1
	s_ashr_i32 s31, s30, 31
	s_lshl_b32 s22, s5, 2
	s_lshl_b64 s[10:11], s[10:11], 2
	s_lshl_b64 s[30:31], s[30:31], 2
	;; [unrolled: 1-line block ×3, first 2 shown]
	s_mul_i32 s9, s23, s13
	s_ashr_i32 s23, s22, 31
	s_add_u32 s10, s10, s30
	s_addc_u32 s11, s11, s31
	s_add_u32 s10, s18, s10
	s_addc_u32 s11, s19, s11
	v_add_co_u32 v18, vcc_lo, s10, v0
	v_add_co_ci_u32_e32 v19, vcc_lo, s11, v1, vcc_lo
	s_lshl_b64 s[10:11], s[22:23], 2
	s_mov_b32 s18, 0xf000f
	s_mov_b32 s19, 0xf000f0
	s_waitcnt vmcnt(1)
	v_alignbit_b32 v0, s0, v6, 16
	v_alignbit_b32 v1, s0, v5, 16
	v_perm_b32 v41, v6, v6, 0x7060302
	s_waitcnt vmcnt(0)
	v_lshrrev_b32_e32 v2, v8, v7
	v_bfe_u32 v3, v7, v26, 4
	v_mov_b32_e32 v24, 0
	v_pk_mul_f16 v42, 0x2c00, v6 op_sel:[0,1] op_sel_hi:[0,1]
	v_perm_b32 v39, v6, v6, 0x5040100
	v_bfe_u32 v4, v2, 12, 4
	v_add_nc_u32_e32 v3, 1, v3
	v_bfe_u32 v7, v2, 8, 4
	v_bfe_u32 v2, v2, 4, 4
	v_mov_b32_e32 v22, 0
	v_add_nc_u32_e32 v4, 1, v4
	v_or_b32_e32 v8, 0xffffe400, v3
	v_add_nc_u32_e32 v7, 1, v7
	v_add_nc_u32_e32 v2, 1, v2
	v_cvt_f32_ubyte0_e32 v3, v3
	v_or_b32_e32 v9, 0xffffe400, v4
	v_cvt_f32_ubyte0_e32 v4, v4
	v_or_b32_e32 v10, 0xffffe400, v7
	v_or_b32_e32 v11, 0xffffe400, v2
	v_cvt_f32_ubyte0_e32 v7, v7
	v_cvt_f32_ubyte0_e32 v2, v2
	v_cvt_f16_f32_e32 v3, v3
	v_cvt_f16_f32_e32 v4, v4
	v_pk_mul_f16 v8, v5, v8
	v_cvt_f16_f32_e32 v7, v7
	v_cvt_f16_f32_e32 v2, v2
	v_sub_f16_e32 v3, 0xd400, v3
	v_sub_f16_e32 v4, 0xd400, v4
	v_pk_mul_f16 v9, v0, v9
	v_sub_f16_e32 v7, 0xd400, v7
	v_sub_f16_e32 v2, 0xd400, v2
	v_pk_mul_f16 v10, v6, v10
	v_pk_mul_f16 v11, v1, v11
	;; [unrolled: 1-line block ×6, first 2 shown]
	v_pk_mul_f16 v40, 0x2c00, v6 op_sel_hi:[0,0]
	v_perm_b32 v35, v5, v5, 0x7060302
	v_pk_mul_f16 v37, 0x2c00, v5 op_sel:[0,1] op_sel_hi:[0,1]
	v_perm_b32 v34, v5, v5, 0x5040100
	v_pk_mul_f16 v36, 0x2c00, v5 op_sel_hi:[0,0]
	v_pack_b32_f16 v43, v8, v8
	v_pack_b32_f16 v45, v9, v9
	;; [unrolled: 1-line block ×8, first 2 shown]
	s_branch .LBB2_19
.LBB2_18:                               ;   in Loop: Header=BB2_19 Depth=1
	global_load_b128 v[0:3], v[18:19], off
	v_dual_mov_b32 v59, s21 :: v_dual_mov_b32 v66, 0
	v_dual_mov_b32 v69, 0 :: v_dual_mov_b32 v70, 0
	ds_load_b128 v[4:7], v59 offset:1584
	ds_load_b128 v[75:78], v59
	ds_load_b128 v[12:15], v59 offset:16
	ds_load_b128 v[79:82], v59 offset:528
	;; [unrolled: 1-line block ×3, first 2 shown]
	v_dual_mov_b32 v67, 0 :: v_dual_mov_b32 v68, 0
	v_dual_mov_b32 v61, 0 :: v_dual_mov_b32 v64, 0
	;; [unrolled: 1-line block ×3, first 2 shown]
	v_add_co_u32 v20, vcc_lo, v18, s6
	v_add_co_ci_u32_e32 v21, vcc_lo, s7, v19, vcc_lo
	v_dual_mov_b32 v63, 0 :: v_dual_mov_b32 v72, 0
	v_dual_mov_b32 v65, 0 :: v_dual_mov_b32 v74, 0
	;; [unrolled: 1-line block ×3, first 2 shown]
	s_add_i32 s28, s28, 32
	s_add_i32 s21, s21, 64
	s_cmp_ge_i32 s28, s15
	s_waitcnt vmcnt(0)
	v_and_or_b32 v83, v0, s18, 0x64006400
	v_and_or_b32 v86, v1, s19, 0x64006400
	;; [unrolled: 1-line block ×5, first 2 shown]
	v_lshrrev_b32_e32 v0, 8, v0
	v_and_or_b32 v85, v1, s18, 0x64006400
	v_lshrrev_b32_e32 v1, 8, v1
	v_and_or_b32 v88, v2, s19, 0x64006400
	;; [unrolled: 2-line block ×3, first 2 shown]
	v_lshrrev_b32_e32 v3, 8, v3
	v_pk_fma_f16 v92, v83, v34, v43
	v_pk_fma_f16 v96, v86, v37, v51
	;; [unrolled: 1-line block ×4, first 2 shown]
	v_and_or_b32 v91, v0, s18, 0x64006400
	v_and_or_b32 v0, v0, s19, 0x64006400
	v_pk_fma_f16 v93, v84, v36, v49
	v_and_or_b32 v83, v1, s18, 0x64006400
	v_and_or_b32 v1, v1, s19, 0x64006400
	v_pk_fma_f16 v94, v85, v35, v48
	;; [unrolled: 3-line block ×4, first 2 shown]
	s_waitcnt lgkmcnt(3)
	v_dot2acc_f32_f16 v69, v87, v75
	v_dot2acc_f32_f16 v66, v92, v75
	v_pk_fma_f16 v99, v91, v34, v43
	v_pk_fma_f16 v100, v0, v36, v49
	;; [unrolled: 1-line block ×3, first 2 shown]
	v_dot2acc_f32_f16 v69, v98, v76
	v_pk_fma_f16 v104, v2, v40, v52
	v_dual_dot2acc_f32_f16 v67, v94, v75 :: v_dual_dot2acc_f32_f16 v66, v93, v76
	v_pk_fma_f16 v106, v3, v42, v53
	ds_load_b128 v[0:3], v59 offset:1056
	v_dual_dot2acc_f32_f16 v68, v86, v75 :: v_dual_dot2acc_f32_f16 v67, v96, v76
	v_pk_fma_f16 v105, v85, v41, v45
	s_waitcnt lgkmcnt(2)
	v_dual_dot2acc_f32_f16 v61, v86, v79 :: v_dual_dot2acc_f32_f16 v66, v99, v77
	v_dot2acc_f32_f16 v70, v92, v79
	v_pk_fma_f16 v101, v83, v35, v48
	v_pk_fma_f16 v103, v84, v39, v44
	s_delay_alu instid0(VALU_DEP_4) | instskip(NEXT) | instid1(VALU_DEP_4)
	v_dot2acc_f32_f16 v61, v97, v80
	v_dual_dot2acc_f32_f16 v71, v94, v79 :: v_dual_dot2acc_f32_f16 v70, v93, v80
	v_dot2acc_f32_f16 v62, v87, v79
	v_dot2acc_f32_f16 v68, v97, v76
	v_dual_dot2acc_f32_f16 v69, v105, v77 :: v_dual_dot2acc_f32_f16 v66, v100, v78
	s_delay_alu instid0(VALU_DEP_4) | instskip(NEXT) | instid1(VALU_DEP_4)
	v_dot2acc_f32_f16 v71, v96, v80
	v_dual_dot2acc_f32_f16 v62, v98, v80 :: v_dual_dot2acc_f32_f16 v67, v101, v77
	s_delay_alu instid0(VALU_DEP_4) | instskip(NEXT) | instid1(VALU_DEP_4)
	v_dot2acc_f32_f16 v68, v103, v77
	v_dual_dot2acc_f32_f16 v70, v99, v81 :: v_dual_dot2acc_f32_f16 v69, v106, v78
	v_dot2acc_f32_f16 v61, v103, v81
	s_delay_alu instid0(VALU_DEP_4) | instskip(NEXT) | instid1(VALU_DEP_4)
	v_dot2acc_f32_f16 v67, v102, v78
	v_dual_dot2acc_f32_f16 v71, v101, v81 :: v_dual_dot2acc_f32_f16 v68, v104, v78
	v_dot2acc_f32_f16 v62, v105, v81
	ds_load_b128 v[78:81], v59 offset:1072
	v_dot2acc_f32_f16 v70, v100, v82
	v_dot2acc_f32_f16 v71, v102, v82
	s_waitcnt lgkmcnt(1)
	v_dual_dot2acc_f32_f16 v61, v104, v82 :: v_dual_dot2acc_f32_f16 v64, v94, v0
	v_dual_mov_b32 v75, 0 :: v_dual_dot2acc_f32_f16 v74, v94, v4
	v_dual_dot2acc_f32_f16 v62, v106, v82 :: v_dual_dot2acc_f32_f16 v63, v92, v0
	s_delay_alu instid0(VALU_DEP_3)
	v_dual_dot2acc_f32_f16 v65, v86, v0 :: v_dual_dot2acc_f32_f16 v64, v96, v1
	v_dot2acc_f32_f16 v60, v86, v4
	v_dot2acc_f32_f16 v72, v87, v0
	;; [unrolled: 1-line block ×3, first 2 shown]
	global_load_b128 v[86:89], v[20:21], off
	v_dot2acc_f32_f16 v64, v101, v2
	v_add_co_u32 v94, vcc_lo, v20, s6
	v_dual_dot2acc_f32_f16 v73, v92, v4 :: v_dual_dot2acc_f32_f16 v72, v98, v1
	v_add_co_ci_u32_e32 v95, vcc_lo, s7, v21, vcc_lo
	v_dot2acc_f32_f16 v63, v93, v1
	s_delay_alu instid0(VALU_DEP_3)
	v_dot2acc_f32_f16 v73, v93, v5
	v_dual_dot2acc_f32_f16 v65, v97, v1 :: v_dual_dot2acc_f32_f16 v64, v102, v3
	global_load_b128 v[90:93], v[94:95], off
	v_dot2acc_f32_f16 v74, v96, v5
	v_dual_dot2acc_f32_f16 v60, v97, v5 :: v_dual_mov_b32 v21, 0
	v_dot2acc_f32_f16 v65, v103, v2
	v_dual_dot2acc_f32_f16 v75, v98, v5 :: v_dual_mov_b32 v20, 0
	v_dot2acc_f32_f16 v72, v105, v2
	v_dot2acc_f32_f16 v63, v99, v2
	;; [unrolled: 1-line block ×4, first 2 shown]
	v_dual_dot2acc_f32_f16 v65, v104, v3 :: v_dual_mov_b32 v76, 0
	v_dot2acc_f32_f16 v72, v106, v3
	v_dot2acc_f32_f16 v63, v100, v3
	v_dot2acc_f32_f16 v75, v105, v6
	v_dot2acc_f32_f16 v60, v103, v6
	v_dot2acc_f32_f16 v74, v102, v7
	v_dot2acc_f32_f16 v73, v100, v7
	ds_load_b128 v[82:85], v59 offset:1600
	v_dot2acc_f32_f16 v75, v106, v7
	v_dual_dot2acc_f32_f16 v60, v104, v7 :: v_dual_add_f32 v69, v69, v56
	v_add_f32_e32 v46, v71, v46
	s_delay_alu instid0(VALU_DEP_3)
	v_dual_add_f32 v54, v61, v54 :: v_dual_add_f32 v23, v75, v23
	v_dual_add_f32 v50, v62, v50 :: v_dual_add_f32 v33, v33, v63
	;; [unrolled: 1-line block ×5, first 2 shown]
	v_add_f32_e32 v32, v64, v32
	s_waitcnt vmcnt(1)
	v_and_or_b32 v0, v86, s18, 0x64006400
	v_lshrrev_b32_e32 v5, 8, v87
	v_and_or_b32 v1, v86, s19, 0x64006400
	v_lshrrev_b32_e32 v2, 8, v86
	v_and_or_b32 v3, v87, s18, 0x64006400
	v_pk_fma_f16 v96, v0, v34, v43
	v_and_or_b32 v0, v5, s18, 0x64006400
	v_lshrrev_b32_e32 v77, 8, v88
	v_pk_fma_f16 v97, v1, v36, v49
	v_and_or_b32 v1, v5, s19, 0x64006400
	v_and_or_b32 v4, v87, s19, 0x64006400
	v_pk_fma_f16 v100, v0, v35, v48
	v_add_co_u32 v0, vcc_lo, v94, s6
	v_and_or_b32 v6, v88, s18, 0x64006400
	v_and_or_b32 v7, v88, s19, 0x64006400
	;; [unrolled: 1-line block ×4, first 2 shown]
	v_lshrrev_b32_e32 v88, 8, v89
	v_and_or_b32 v89, v2, s18, 0x64006400
	v_and_or_b32 v2, v2, s19, 0x64006400
	v_pk_fma_f16 v5, v3, v35, v48
	v_and_or_b32 v3, v77, s18, 0x64006400
	v_pk_fma_f16 v101, v1, v37, v51
	v_add_co_ci_u32_e32 v1, vcc_lo, s7, v95, vcc_lo
	v_pk_fma_f16 v99, v2, v36, v49
	s_delay_alu instid0(VALU_DEP_4)
	v_pk_fma_f16 v102, v3, v39, v44
	v_and_or_b32 v77, v77, s19, 0x64006400
	global_load_b128 v[0:3], v[0:1], off
	v_pk_fma_f16 v6, v6, v39, v44
	v_pk_fma_f16 v4, v4, v37, v51
	;; [unrolled: 1-line block ×5, first 2 shown]
	v_dual_dot2acc_f32_f16 v76, v96, v12 :: v_dual_mov_b32 v77, 0
	v_dot2acc_f32_f16 v20, v6, v12
	v_dot2acc_f32_f16 v21, v5, v12
	v_and_or_b32 v98, v88, s18, 0x64006400
	v_pk_fma_f16 v87, v87, v42, v53
	v_pk_fma_f16 v89, v89, v34, v43
	v_dual_dot2acc_f32_f16 v20, v7, v13 :: v_dual_dot2acc_f32_f16 v77, v86, v12
	v_dot2acc_f32_f16 v76, v97, v13
	v_dot2acc_f32_f16 v21, v4, v13
	v_and_or_b32 v88, v88, s19, 0x64006400
	v_pk_fma_f16 v98, v98, v41, v45
	s_delay_alu instid0(VALU_DEP_4) | instskip(NEXT) | instid1(VALU_DEP_4)
	v_dual_dot2acc_f32_f16 v77, v87, v13 :: v_dual_dot2acc_f32_f16 v76, v89, v14
	v_dot2acc_f32_f16 v21, v100, v14
	s_delay_alu instid0(VALU_DEP_4) | instskip(SKIP_1) | instid1(VALU_DEP_4)
	v_pk_fma_f16 v88, v88, v42, v53
	v_dual_mov_b32 v12, 0 :: v_dual_mov_b32 v13, 0
	v_dot2acc_f32_f16 v76, v99, v15
	s_delay_alu instid0(VALU_DEP_4) | instskip(SKIP_1) | instid1(VALU_DEP_4)
	v_dual_dot2acc_f32_f16 v20, v102, v14 :: v_dual_dot2acc_f32_f16 v21, v101, v15
	v_dual_dot2acc_f32_f16 v77, v98, v14 :: v_dual_mov_b32 v14, 0
	v_dot2acc_f32_f16 v12, v96, v8
	s_delay_alu instid0(VALU_DEP_3) | instskip(NEXT) | instid1(VALU_DEP_3)
	v_dot2acc_f32_f16 v20, v103, v15
	v_dual_mov_b32 v94, 0 :: v_dual_dot2acc_f32_f16 v77, v88, v15
	s_delay_alu instid0(VALU_DEP_4)
	v_dot2acc_f32_f16 v14, v6, v8
	v_dot2acc_f32_f16 v13, v5, v8
	v_dual_mov_b32 v15, 0 :: v_dual_dot2acc_f32_f16 v12, v97, v9
	s_waitcnt lgkmcnt(0)
	v_dot2acc_f32_f16 v94, v86, v82
	v_dot2acc_f32_f16 v14, v7, v9
	;; [unrolled: 1-line block ×3, first 2 shown]
	v_dual_dot2acc_f32_f16 v15, v86, v8 :: v_dual_dot2acc_f32_f16 v12, v89, v10
	v_dual_mov_b32 v8, 0 :: v_dual_mov_b32 v95, 0
	s_delay_alu instid0(VALU_DEP_3) | instskip(NEXT) | instid1(VALU_DEP_3)
	v_dot2acc_f32_f16 v13, v100, v10
	v_dot2acc_f32_f16 v15, v87, v9
	s_delay_alu instid0(VALU_DEP_4) | instskip(SKIP_1) | instid1(VALU_DEP_4)
	v_dot2acc_f32_f16 v12, v99, v11
	v_dual_dot2acc_f32_f16 v14, v102, v10 :: v_dual_mov_b32 v9, 0
	v_dot2acc_f32_f16 v13, v101, v11
	s_delay_alu instid0(VALU_DEP_4) | instskip(NEXT) | instid1(VALU_DEP_3)
	v_dual_dot2acc_f32_f16 v15, v98, v10 :: v_dual_mov_b32 v10, 0
	v_dot2acc_f32_f16 v14, v103, v11
	v_dot2acc_f32_f16 v8, v96, v78
	;; [unrolled: 1-line block ×3, first 2 shown]
	s_delay_alu instid0(VALU_DEP_4) | instskip(SKIP_1) | instid1(VALU_DEP_4)
	v_dual_dot2acc_f32_f16 v15, v88, v11 :: v_dual_dot2acc_f32_f16 v10, v6, v78
	v_dot2acc_f32_f16 v9, v5, v78
	v_dual_mov_b32 v11, 0 :: v_dual_dot2acc_f32_f16 v8, v97, v79
	v_dual_add_f32 v12, v47, v12 :: v_dual_add_f32 v13, v13, v46
	s_delay_alu instid0(VALU_DEP_2) | instskip(NEXT) | instid1(VALU_DEP_3)
	v_dual_dot2acc_f32_f16 v10, v7, v79 :: v_dual_dot2acc_f32_f16 v11, v86, v78
	v_dual_dot2acc_f32_f16 v9, v4, v79 :: v_dual_dot2acc_f32_f16 v8, v89, v80
	v_mov_b32_e32 v86, 0
	s_delay_alu instid0(VALU_DEP_3) | instskip(NEXT) | instid1(VALU_DEP_3)
	v_dual_mov_b32 v78, 0 :: v_dual_dot2acc_f32_f16 v11, v87, v79
	v_dual_dot2acc_f32_f16 v9, v100, v80 :: v_dual_dot2acc_f32_f16 v8, v99, v81
	v_dot2acc_f32_f16 v10, v102, v80
	v_add_f32_e32 v46, v14, v54
	v_add_co_u32 v18, vcc_lo, v18, s10
	s_delay_alu instid0(VALU_DEP_4) | instskip(SKIP_3) | instid1(VALU_DEP_3)
	v_add_f32_e32 v33, v33, v8
	v_dot2acc_f32_f16 v9, v101, v81
	v_dual_dot2acc_f32_f16 v11, v98, v80 :: v_dual_dot2acc_f32_f16 v10, v103, v81
	v_dual_mov_b32 v80, 0 :: v_dual_mov_b32 v79, 0
	v_dual_add_f32 v47, v15, v50 :: v_dual_add_f32 v32, v9, v32
	s_delay_alu instid0(VALU_DEP_2) | instskip(NEXT) | instid1(VALU_DEP_3)
	v_dual_dot2acc_f32_f16 v11, v88, v81 :: v_dual_dot2acc_f32_f16 v80, v5, v82
	v_dot2acc_f32_f16 v79, v96, v82
	v_dual_mov_b32 v81, 0 :: v_dual_mov_b32 v96, 0
	s_delay_alu instid0(VALU_DEP_3) | instskip(NEXT) | instid1(VALU_DEP_2)
	v_dual_add_f32 v31, v10, v31 :: v_dual_add_f32 v38, v11, v38
	v_dual_dot2acc_f32_f16 v80, v4, v83 :: v_dual_dot2acc_f32_f16 v81, v6, v82
	v_dual_mov_b32 v82, 0 :: v_dual_mov_b32 v87, 0
	s_delay_alu instid0(VALU_DEP_2) | instskip(NEXT) | instid1(VALU_DEP_3)
	v_dual_dot2acc_f32_f16 v79, v97, v83 :: v_dual_dot2acc_f32_f16 v80, v100, v84
	v_dot2acc_f32_f16 v81, v7, v83
	v_dual_mov_b32 v83, 0 :: v_dual_dot2acc_f32_f16 v94, v98, v84
	s_delay_alu instid0(VALU_DEP_3) | instskip(NEXT) | instid1(VALU_DEP_3)
	v_dot2acc_f32_f16 v79, v89, v84
	v_dual_dot2acc_f32_f16 v80, v101, v85 :: v_dual_dot2acc_f32_f16 v81, v102, v84
	v_add_f32_e32 v101, v55, v66
	v_add_f32_e32 v102, v67, v58
	s_waitcnt vmcnt(1)
	v_and_or_b32 v89, v90, s18, 0x64006400
	v_and_or_b32 v97, v90, s19, 0x64006400
	v_dot2acc_f32_f16 v81, v103, v85
	v_add_f32_e32 v103, v68, v57
	ds_load_b128 v[55:58], v59 offset:32
	ds_load_b128 v[4:7], v59 offset:48
	;; [unrolled: 1-line block ×4, first 2 shown]
	v_lshrrev_b32_e32 v84, 8, v90
	v_and_or_b32 v90, v91, s18, 0x64006400
	v_and_or_b32 v98, v91, s19, 0x64006400
	v_lshrrev_b32_e32 v91, 8, v91
	v_dot2acc_f32_f16 v94, v88, v85
	v_dot2acc_f32_f16 v79, v99, v85
	v_and_or_b32 v85, v92, s18, 0x64006400
	v_and_or_b32 v88, v92, s19, 0x64006400
	v_lshrrev_b32_e32 v92, 8, v92
	v_and_or_b32 v99, v93, s18, 0x64006400
	v_and_or_b32 v100, v93, s19, 0x64006400
	v_lshrrev_b32_e32 v93, 8, v93
	v_pk_fma_f16 v71, v89, v34, v43
	v_pk_fma_f16 v72, v97, v36, v49
	v_and_or_b32 v73, v91, s18, 0x64006400
	v_and_or_b32 v74, v91, s19, 0x64006400
	v_pk_fma_f16 v75, v90, v35, v48
	v_and_or_b32 v89, v92, s18, 0x64006400
	v_and_or_b32 v90, v92, s19, 0x64006400
	v_pk_fma_f16 v85, v85, v39, v44
	s_waitcnt lgkmcnt(3)
	v_dual_add_f32 v21, v21, v102 :: v_dual_dot2acc_f32_f16 v82, v71, v55
	v_and_or_b32 v91, v93, s18, 0x64006400
	v_and_or_b32 v92, v93, s19, 0x64006400
	v_pk_fma_f16 v93, v99, v41, v45
	v_and_or_b32 v60, v84, s18, 0x64006400
	v_and_or_b32 v70, v84, s19, 0x64006400
	v_pk_fma_f16 v84, v98, v37, v51
	v_pk_fma_f16 v88, v88, v40, v52
	;; [unrolled: 1-line block ×3, first 2 shown]
	v_dual_dot2acc_f32_f16 v95, v85, v55 :: v_dual_dot2acc_f32_f16 v82, v72, v56
	v_dot2acc_f32_f16 v86, v75, v55
	s_waitcnt lgkmcnt(1)
	v_dual_dot2acc_f32_f16 v96, v93, v55 :: v_dual_dot2acc_f32_f16 v87, v75, v61
	v_dual_add_f32 v76, v101, v76 :: v_dual_dot2acc_f32_f16 v83, v71, v61
	v_pk_fma_f16 v98, v60, v34, v43
	v_pk_fma_f16 v73, v73, v35, v48
	;; [unrolled: 1-line block ×4, first 2 shown]
	v_dot2acc_f32_f16 v95, v88, v56
	v_dot2acc_f32_f16 v86, v84, v56
	v_dual_dot2acc_f32_f16 v96, v97, v56 :: v_dual_dot2acc_f32_f16 v83, v72, v62
	v_pk_fma_f16 v70, v70, v36, v49
	v_pk_fma_f16 v74, v74, v37, v51
	;; [unrolled: 1-line block ×4, first 2 shown]
	v_dual_dot2acc_f32_f16 v87, v84, v62 :: v_dual_dot2acc_f32_f16 v82, v98, v57
	v_dot2acc_f32_f16 v95, v89, v57
	v_dual_dot2acc_f32_f16 v86, v73, v57 :: v_dual_dot2acc_f32_f16 v83, v98, v63
	s_delay_alu instid0(VALU_DEP_3)
	v_dual_dot2acc_f32_f16 v96, v91, v57 :: v_dual_dot2acc_f32_f16 v87, v73, v63
	ds_load_b128 v[8:11], v59 offset:1088
	v_dual_add_f32 v20, v20, v103 :: v_dual_add_f32 v55, v77, v69
	v_dot2acc_f32_f16 v86, v74, v58
	v_dual_dot2acc_f32_f16 v95, v90, v58 :: v_dual_dot2acc_f32_f16 v78, v85, v61
	v_dot2acc_f32_f16 v82, v70, v58
	v_dot2acc_f32_f16 v96, v92, v58
	v_dual_add_f32 v50, v81, v22 :: v_dual_dot2acc_f32_f16 v83, v70, v64
	s_delay_alu instid0(VALU_DEP_3) | instskip(NEXT) | instid1(VALU_DEP_3)
	v_dual_add_f32 v69, v95, v20 :: v_dual_add_f32 v56, v76, v82
	v_dual_dot2acc_f32_f16 v87, v74, v64 :: v_dual_add_f32 v76, v96, v55
	v_dual_mov_b32 v55, 0 :: v_dual_dot2acc_f32_f16 v78, v88, v62
	v_dual_add_f32 v25, v25, v79 :: v_dual_add_f32 v24, v80, v24
	s_delay_alu instid0(VALU_DEP_3) | instskip(NEXT) | instid1(VALU_DEP_3)
	v_dual_add_f32 v54, v94, v23 :: v_dual_add_f32 v79, v87, v13
	v_dot2acc_f32_f16 v55, v93, v61
	v_mov_b32_e32 v61, 0
	v_dual_add_f32 v77, v12, v83 :: v_dual_mov_b32 v58, 0
	s_delay_alu instid0(VALU_DEP_3)
	v_dual_mov_b32 v60, 0 :: v_dual_dot2acc_f32_f16 v55, v97, v62
	ds_load_b128 v[12:15], v59 offset:1104
	s_waitcnt lgkmcnt(1)
	v_dot2acc_f32_f16 v61, v85, v8
	v_dual_dot2acc_f32_f16 v58, v71, v8 :: v_dual_add_f32 v57, v86, v21
	ds_load_b128 v[20:23], v59 offset:1616
	v_add_co_ci_u32_e32 v19, vcc_lo, s11, v19, vcc_lo
	v_dual_dot2acc_f32_f16 v61, v88, v9 :: v_dual_dot2acc_f32_f16 v60, v75, v8
	s_delay_alu instid0(VALU_DEP_1) | instskip(NEXT) | instid1(VALU_DEP_2)
	v_dual_dot2acc_f32_f16 v58, v72, v9 :: v_dual_dot2acc_f32_f16 v61, v89, v10
	v_dual_dot2acc_f32_f16 v55, v91, v63 :: v_dual_dot2acc_f32_f16 v60, v84, v9
	v_dot2acc_f32_f16 v78, v89, v63
	s_delay_alu instid0(VALU_DEP_3) | instskip(NEXT) | instid1(VALU_DEP_3)
	v_dot2acc_f32_f16 v61, v90, v11
	v_dual_dot2acc_f32_f16 v55, v92, v64 :: v_dual_dot2acc_f32_f16 v58, v98, v10
	s_delay_alu instid0(VALU_DEP_4) | instskip(NEXT) | instid1(VALU_DEP_3)
	v_dot2acc_f32_f16 v60, v73, v10
	v_add_f32_e32 v31, v61, v31
	s_delay_alu instid0(VALU_DEP_3) | instskip(SKIP_1) | instid1(VALU_DEP_4)
	v_dot2acc_f32_f16 v58, v70, v11
	v_dot2acc_f32_f16 v78, v90, v64
	;; [unrolled: 1-line block ×3, first 2 shown]
	v_dual_add_f32 v64, v55, v47 :: v_dual_mov_b32 v47, 0
	s_delay_alu instid0(VALU_DEP_4) | instskip(NEXT) | instid1(VALU_DEP_4)
	v_add_f32_e32 v33, v33, v58
	v_dual_add_f32 v63, v78, v46 :: v_dual_mov_b32 v46, 0
	v_mov_b32_e32 v55, 0
	s_waitcnt lgkmcnt(0)
	v_dual_dot2acc_f32_f16 v47, v71, v20 :: v_dual_mov_b32 v58, 0
	s_delay_alu instid0(VALU_DEP_2) | instskip(SKIP_1) | instid1(VALU_DEP_3)
	v_dot2acc_f32_f16 v55, v75, v20
	v_dot2acc_f32_f16 v46, v93, v8
	v_dual_mov_b32 v8, 0 :: v_dual_dot2acc_f32_f16 v47, v72, v21
	v_add_f32_e32 v32, v60, v32
	s_delay_alu instid0(VALU_DEP_4) | instskip(SKIP_2) | instid1(VALU_DEP_1)
	v_dot2acc_f32_f16 v55, v84, v21
	ds_load_b128 v[59:62], v59 offset:1632
	v_dual_dot2acc_f32_f16 v47, v98, v22 :: v_dual_dot2acc_f32_f16 v46, v97, v9
	v_dual_dot2acc_f32_f16 v47, v70, v23 :: v_dual_dot2acc_f32_f16 v46, v91, v10
	v_dot2acc_f32_f16 v55, v73, v22
	s_delay_alu instid0(VALU_DEP_2) | instskip(NEXT) | instid1(VALU_DEP_3)
	v_add_f32_e32 v10, v25, v47
	v_dot2acc_f32_f16 v46, v92, v11
	s_delay_alu instid0(VALU_DEP_3) | instskip(NEXT) | instid1(VALU_DEP_2)
	v_dual_dot2acc_f32_f16 v8, v85, v20 :: v_dual_dot2acc_f32_f16 v55, v74, v23
	v_dual_dot2acc_f32_f16 v58, v93, v20 :: v_dual_add_f32 v9, v46, v38
	s_delay_alu instid0(VALU_DEP_2) | instskip(NEXT) | instid1(VALU_DEP_2)
	v_dual_dot2acc_f32_f16 v8, v88, v21 :: v_dual_add_f32 v11, v55, v24
	v_dot2acc_f32_f16 v58, v97, v21
	s_delay_alu instid0(VALU_DEP_2) | instskip(NEXT) | instid1(VALU_DEP_1)
	v_dot2acc_f32_f16 v8, v89, v22
	v_dot2acc_f32_f16 v8, v90, v23
	s_delay_alu instid0(VALU_DEP_1)
	v_add_f32_e32 v8, v8, v50
	s_waitcnt vmcnt(0)
	v_lshrrev_b32_e32 v47, 8, v2
	v_and_or_b32 v50, v2, s18, 0x64006400
	v_and_or_b32 v2, v2, s19, 0x64006400
	;; [unrolled: 1-line block ×3, first 2 shown]
	v_lshrrev_b32_e32 v24, 8, v1
	v_lshrrev_b32_e32 v20, 8, v0
	v_pk_fma_f16 v70, v50, v39, v44
	v_pk_fma_f16 v2, v2, v40, v52
	v_dot2acc_f32_f16 v58, v91, v22
	v_lshrrev_b32_e32 v50, 8, v3
	v_and_or_b32 v0, v0, s19, 0x64006400
	v_pk_fma_f16 v21, v21, v34, v43
	v_and_or_b32 v38, v24, s18, 0x64006400
	v_dot2acc_f32_f16 v58, v92, v23
	v_and_or_b32 v22, v20, s18, 0x64006400
	v_pk_fma_f16 v0, v0, v36, v49
	v_and_or_b32 v20, v20, s19, 0x64006400
	v_pk_fma_f16 v38, v38, v35, v48
	v_add_f32_e32 v23, v58, v54
	v_and_or_b32 v54, v47, s18, 0x64006400
	v_and_or_b32 v47, v47, s19, 0x64006400
	v_pk_fma_f16 v22, v22, v34, v43
	v_pk_fma_f16 v20, v20, v36, v49
	v_and_or_b32 v25, v1, s18, 0x64006400
	v_pk_fma_f16 v71, v54, v39, v44
	v_pk_fma_f16 v72, v47, v40, v52
	v_and_or_b32 v47, v3, s18, 0x64006400
	v_and_or_b32 v3, v3, s19, 0x64006400
	;; [unrolled: 1-line block ×4, first 2 shown]
	v_pk_fma_f16 v25, v25, v35, v48
	v_pk_fma_f16 v73, v47, v41, v45
	v_mov_b32_e32 v47, 0
	v_pk_fma_f16 v3, v3, v42, v53
	v_pk_fma_f16 v74, v54, v41, v45
	v_mov_b32_e32 v54, 0
	v_pk_fma_f16 v1, v1, v37, v51
	v_dot2acc_f32_f16 v47, v70, v4
	v_and_or_b32 v50, v50, s19, 0x64006400
	v_and_or_b32 v24, v24, s19, 0x64006400
	v_dot2acc_f32_f16 v54, v21, v65
	s_delay_alu instid0(VALU_DEP_4) | instskip(NEXT) | instid1(VALU_DEP_4)
	v_dot2acc_f32_f16 v47, v2, v5
	v_pk_fma_f16 v75, v50, v42, v53
	s_delay_alu instid0(VALU_DEP_4) | instskip(NEXT) | instid1(VALU_DEP_4)
	v_pk_fma_f16 v24, v24, v37, v51
	v_dot2acc_f32_f16 v54, v0, v66
	s_delay_alu instid0(VALU_DEP_4) | instskip(NEXT) | instid1(VALU_DEP_2)
	v_dual_dot2acc_f32_f16 v47, v71, v6 :: v_dual_mov_b32 v46, 0
	v_dot2acc_f32_f16 v54, v22, v67
	s_delay_alu instid0(VALU_DEP_2) | instskip(NEXT) | instid1(VALU_DEP_2)
	v_dual_dot2acc_f32_f16 v47, v72, v7 :: v_dual_dot2acc_f32_f16 v46, v21, v4
	v_dot2acc_f32_f16 v54, v20, v68
	s_delay_alu instid0(VALU_DEP_2) | instskip(NEXT) | instid1(VALU_DEP_1)
	v_dot2acc_f32_f16 v46, v0, v5
	v_dot2acc_f32_f16 v46, v22, v6
	s_delay_alu instid0(VALU_DEP_1) | instskip(NEXT) | instid1(VALU_DEP_1)
	v_dot2acc_f32_f16 v46, v20, v7
	v_dual_add_f32 v55, v56, v46 :: v_dual_mov_b32 v46, 0
	s_delay_alu instid0(VALU_DEP_1) | instskip(NEXT) | instid1(VALU_DEP_1)
	v_dot2acc_f32_f16 v46, v25, v4
	v_dot2acc_f32_f16 v46, v1, v5
	s_delay_alu instid0(VALU_DEP_1) | instskip(NEXT) | instid1(VALU_DEP_1)
	v_dot2acc_f32_f16 v46, v38, v6
	v_dot2acc_f32_f16 v46, v24, v7
	s_delay_alu instid0(VALU_DEP_1) | instskip(SKIP_2) | instid1(VALU_DEP_1)
	v_add_f32_e32 v58, v46, v57
	v_add_f32_e32 v57, v47, v69
	v_dual_mov_b32 v69, 0 :: v_dual_mov_b32 v50, 0
	v_dot2acc_f32_f16 v69, v70, v12
	s_delay_alu instid0(VALU_DEP_1) | instskip(NEXT) | instid1(VALU_DEP_1)
	v_dual_dot2acc_f32_f16 v50, v73, v4 :: v_dual_dot2acc_f32_f16 v69, v2, v13
	v_dual_dot2acc_f32_f16 v50, v3, v5 :: v_dual_mov_b32 v5, 0
	s_delay_alu instid0(VALU_DEP_2) | instskip(NEXT) | instid1(VALU_DEP_2)
	v_dot2acc_f32_f16 v69, v71, v14
	v_dual_dot2acc_f32_f16 v50, v74, v6 :: v_dual_dot2acc_f32_f16 v5, v73, v65
	s_delay_alu instid0(VALU_DEP_2) | instskip(NEXT) | instid1(VALU_DEP_2)
	v_dot2acc_f32_f16 v69, v72, v15
	v_dot2acc_f32_f16 v50, v75, v7
	s_delay_alu instid0(VALU_DEP_3) | instskip(SKIP_1) | instid1(VALU_DEP_3)
	v_dot2acc_f32_f16 v5, v3, v66
	v_mov_b32_e32 v7, 0
	v_dual_add_f32 v31, v69, v31 :: v_dual_add_f32 v56, v50, v76
	s_delay_alu instid0(VALU_DEP_3) | instskip(NEXT) | instid1(VALU_DEP_3)
	v_dot2acc_f32_f16 v5, v74, v67
	v_dual_dot2acc_f32_f16 v7, v25, v12 :: v_dual_mov_b32 v78, 0
	s_delay_alu instid0(VALU_DEP_2) | instskip(NEXT) | instid1(VALU_DEP_2)
	v_dot2acc_f32_f16 v5, v75, v68
	v_dot2acc_f32_f16 v7, v1, v13
	s_delay_alu instid0(VALU_DEP_3) | instskip(NEXT) | instid1(VALU_DEP_3)
	v_dot2acc_f32_f16 v78, v25, v65
	v_dual_add_f32 v50, v5, v64 :: v_dual_mov_b32 v5, 0
	s_delay_alu instid0(VALU_DEP_3) | instskip(NEXT) | instid1(VALU_DEP_3)
	v_dot2acc_f32_f16 v7, v38, v14
	v_dot2acc_f32_f16 v78, v1, v66
	s_waitcnt lgkmcnt(0)
	s_delay_alu instid0(VALU_DEP_3) | instskip(NEXT) | instid1(VALU_DEP_3)
	v_dot2acc_f32_f16 v5, v21, v59
	v_dot2acc_f32_f16 v7, v24, v15
	s_delay_alu instid0(VALU_DEP_3) | instskip(NEXT) | instid1(VALU_DEP_3)
	v_dual_dot2acc_f32_f16 v78, v38, v67 :: v_dual_add_f32 v47, v77, v54
	v_dual_dot2acc_f32_f16 v5, v0, v60 :: v_dual_mov_b32 v4, 0
	s_delay_alu instid0(VALU_DEP_3) | instskip(NEXT) | instid1(VALU_DEP_2)
	v_dual_add_f32 v32, v7, v32 :: v_dual_mov_b32 v7, 0
	v_dot2acc_f32_f16 v5, v22, v61
	s_delay_alu instid0(VALU_DEP_3) | instskip(NEXT) | instid1(VALU_DEP_3)
	v_dot2acc_f32_f16 v4, v70, v65
	v_dot2acc_f32_f16 v7, v70, v59
	s_delay_alu instid0(VALU_DEP_3) | instskip(NEXT) | instid1(VALU_DEP_3)
	v_dot2acc_f32_f16 v5, v20, v62
	v_dot2acc_f32_f16 v4, v2, v66
	s_delay_alu instid0(VALU_DEP_1) | instskip(NEXT) | instid1(VALU_DEP_1)
	v_dual_dot2acc_f32_f16 v7, v2, v60 :: v_dual_dot2acc_f32_f16 v4, v71, v67
	v_dual_dot2acc_f32_f16 v7, v71, v61 :: v_dual_dot2acc_f32_f16 v4, v72, v68
	s_delay_alu instid0(VALU_DEP_1) | instskip(NEXT) | instid1(VALU_DEP_2)
	v_dot2acc_f32_f16 v7, v72, v62
	v_dual_add_f32 v54, v4, v63 :: v_dual_mov_b32 v63, 0
	v_dot2acc_f32_f16 v78, v24, v68
	s_delay_alu instid0(VALU_DEP_2) | instskip(NEXT) | instid1(VALU_DEP_2)
	v_dual_mov_b32 v4, 0 :: v_dual_dot2acc_f32_f16 v63, v73, v59
	v_add_f32_e32 v46, v78, v79
	s_delay_alu instid0(VALU_DEP_2) | instskip(NEXT) | instid1(VALU_DEP_3)
	v_dot2acc_f32_f16 v4, v73, v12
	v_dual_dot2acc_f32_f16 v63, v3, v60 :: v_dual_mov_b32 v6, 0
	s_delay_alu instid0(VALU_DEP_2) | instskip(NEXT) | instid1(VALU_DEP_2)
	v_dot2acc_f32_f16 v4, v3, v13
	v_dual_dot2acc_f32_f16 v63, v74, v61 :: v_dual_dot2acc_f32_f16 v6, v21, v12
	s_delay_alu instid0(VALU_DEP_2) | instskip(NEXT) | instid1(VALU_DEP_2)
	v_dot2acc_f32_f16 v4, v74, v14
	v_dual_dot2acc_f32_f16 v63, v75, v62 :: v_dual_dot2acc_f32_f16 v6, v0, v13
	s_delay_alu instid0(VALU_DEP_2) | instskip(NEXT) | instid1(VALU_DEP_2)
	v_dot2acc_f32_f16 v4, v75, v15
	v_dual_add_f32 v23, v63, v23 :: v_dual_dot2acc_f32_f16 v6, v22, v14
	v_add_f32_e32 v22, v7, v8
	s_delay_alu instid0(VALU_DEP_2) | instskip(NEXT) | instid1(VALU_DEP_1)
	v_dot2acc_f32_f16 v6, v20, v15
	v_dual_add_f32 v33, v33, v6 :: v_dual_mov_b32 v6, 0
	s_delay_alu instid0(VALU_DEP_1) | instskip(NEXT) | instid1(VALU_DEP_1)
	v_dual_dot2acc_f32_f16 v6, v25, v59 :: v_dual_add_f32 v25, v10, v5
	v_dot2acc_f32_f16 v6, v1, v60
	s_delay_alu instid0(VALU_DEP_1) | instskip(SKIP_1) | instid1(VALU_DEP_2)
	v_dot2acc_f32_f16 v6, v38, v61
	v_add_f32_e32 v38, v4, v9
	v_dot2acc_f32_f16 v6, v24, v62
	s_delay_alu instid0(VALU_DEP_1)
	v_add_f32_e32 v24, v6, v11
	s_cbranch_scc1 .LBB2_21
.LBB2_19:                               ; =>This Inner Loop Header: Depth=1
	s_cmp_lg_u32 s28, s9
	s_cbranch_scc1 .LBB2_18
; %bb.20:                               ;   in Loop: Header=BB2_19 Depth=1
	s_add_i32 s20, s20, 1
	s_add_i32 s9, s9, s13
	s_mul_i32 s22, s20, s14
	s_mul_i32 s30, s20, s5
	s_ashr_i32 s23, s22, 31
	s_ashr_i32 s31, s30, 31
	s_lshl_b64 s[22:23], s[22:23], 2
	s_delay_alu instid0(SALU_CYCLE_1) | instskip(SKIP_2) | instid1(SALU_CYCLE_1)
	v_add_co_u32 v0, vcc_lo, v29, s22
	v_add_co_ci_u32_e32 v1, vcc_lo, s23, v30, vcc_lo
	s_lshl_b64 s[22:23], s[30:31], 1
	v_add_co_u32 v2, vcc_lo, v27, s22
	v_add_co_ci_u32_e32 v3, vcc_lo, s23, v28, vcc_lo
	global_load_b32 v4, v[0:1], off
	global_load_b64 v[0:1], v[2:3], off
	s_waitcnt vmcnt(1)
	v_lshrrev_b32_e32 v2, v26, v4
	v_bfe_u32 v3, v4, v26, 4
	s_waitcnt vmcnt(0)
	v_alignbit_b32 v4, s0, v0, 16
	v_alignbit_b32 v5, s0, v1, 16
	v_perm_b32 v34, v0, v0, 0x5040100
	v_bfe_u32 v6, v2, 4, 4
	v_add_nc_u32_e32 v3, 1, v3
	v_bfe_u32 v7, v2, 8, 4
	v_bfe_u32 v2, v2, 12, 4
	v_pk_mul_f16 v36, 0x2c00, v0 op_sel_hi:[0,0]
	v_add_nc_u32_e32 v6, 1, v6
	v_cvt_f32_ubyte0_e32 v8, v3
	v_or_b32_e32 v3, 0xffffe400, v3
	v_add_nc_u32_e32 v7, 1, v7
	v_add_nc_u32_e32 v2, 1, v2
	v_or_b32_e32 v9, 0xffffe400, v6
	v_cvt_f32_ubyte0_e32 v6, v6
	v_pk_mul_f16 v3, v0, v3
	v_or_b32_e32 v10, 0xffffe400, v7
	v_cvt_f32_ubyte0_e32 v7, v7
	v_or_b32_e32 v11, 0xffffe400, v2
	v_cvt_f32_ubyte0_e32 v2, v2
	v_cvt_f16_f32_e32 v8, v8
	v_pack_b32_f16 v43, v3, v3
	v_cvt_f16_f32_e32 v3, v6
	v_cvt_f16_f32_e32 v7, v7
	;; [unrolled: 1-line block ×3, first 2 shown]
	v_sub_f16_e32 v8, 0xd400, v8
	v_perm_b32 v35, v0, v0, 0x7060302
	v_sub_f16_e32 v3, 0xd400, v3
	v_sub_f16_e32 v7, 0xd400, v7
	;; [unrolled: 1-line block ×3, first 2 shown]
	v_pk_mul_f16 v37, 0x2c00, v0 op_sel:[0,1] op_sel_hi:[0,1]
	v_pk_mul_f16 v6, v4, v9
	v_pk_mul_f16 v9, v1, v10
	;; [unrolled: 1-line block ×7, first 2 shown]
	v_perm_b32 v39, v1, v1, 0x5040100
	v_pk_mul_f16 v40, 0x2c00, v1 op_sel_hi:[0,0]
	v_perm_b32 v41, v1, v1, 0x7060302
	v_pack_b32_f16 v48, v6, v6
	v_pack_b32_f16 v44, v9, v9
	;; [unrolled: 1-line block ×7, first 2 shown]
	v_pk_mul_f16 v42, 0x2c00, v1 op_sel:[0,1] op_sel_hi:[0,1]
	s_branch .LBB2_18
.LBB2_21:
	s_bitcmp1_b32 s2, 0
	v_add_co_u32 v6, vcc_lo, s16, v16
	s_cselect_b32 s2, -1, 0
	s_cmp_lg_u64 s[24:25], 0
	v_add_co_ci_u32_e32 v7, vcc_lo, s17, v17, vcc_lo
	s_cselect_b32 s5, -1, 0
	s_delay_alu instid0(SALU_CYCLE_1) | instskip(SKIP_4) | instid1(SALU_CYCLE_1)
	s_and_b32 s14, s5, s2
	s_cmp_gt_i32 s3, 0
	v_cndmask_b32_e64 v8, 0, 1, s14
	s_cselect_b32 s2, -1, 0
	s_ashr_i32 s13, s12, 31
	s_lshl_b64 s[6:7], s[12:13], 2
	s_delay_alu instid0(VALU_DEP_1)
	v_cmp_ne_u32_e32 vcc_lo, 1, v8
	s_add_u32 s6, s26, s6
	s_addc_u32 s7, s27, s7
	s_abs_i32 s5, s8
	s_load_b32 s10, s[6:7], 0x0
	v_cvt_f32_u32_e32 v0, s5
	s_sub_i32 s9, 0, s5
	s_ashr_i32 s12, s8, 31
	s_delay_alu instid0(VALU_DEP_1) | instskip(SKIP_2) | instid1(VALU_DEP_1)
	v_rcp_iflag_f32_e32 v0, v0
	s_waitcnt_depctr 0xfff
	v_mul_f32_e32 v0, 0x4f7ffffe, v0
	v_cvt_u32_f32_e32 v0, v0
	s_delay_alu instid0(VALU_DEP_1) | instskip(NEXT) | instid1(VALU_DEP_1)
	v_readfirstlane_b32 s13, v0
	s_mul_i32 s9, s9, s13
	s_delay_alu instid0(SALU_CYCLE_1)
	s_mul_hi_u32 s11, s13, s9
	s_waitcnt lgkmcnt(0)
	s_abs_i32 s9, s10
	s_add_i32 s13, s13, s11
	s_ashr_i32 s11, s10, 31
	s_mul_hi_u32 s8, s9, s13
	s_xor_b32 s18, s11, s12
	s_mul_i32 s15, s8, s5
	s_add_i32 s19, s8, 1
	s_sub_i32 s15, s9, s15
	s_delay_alu instid0(SALU_CYCLE_1)
	s_sub_i32 s20, s15, s5
	s_cmp_ge_u32 s15, s5
	s_cselect_b32 s8, s19, s8
	s_cselect_b32 s15, s20, s15
	s_add_i32 s19, s8, 1
	s_cmp_ge_u32 s15, s5
	s_cselect_b32 s8, s19, s8
	s_delay_alu instid0(SALU_CYCLE_1) | instskip(NEXT) | instid1(SALU_CYCLE_1)
	s_xor_b32 s8, s8, s18
	s_sub_i32 s8, s8, s18
	s_delay_alu instid0(SALU_CYCLE_1)
	s_cmp_lt_i32 s8, s4
	s_cbranch_scc0 .LBB2_29
; %bb.22:
	s_and_b32 vcc_lo, exec_lo, vcc_lo
	s_cbranch_vccnz .LBB2_24
; %bb.23:
	s_lshl_b64 s[16:17], s[10:11], 2
	s_delay_alu instid0(SALU_CYCLE_1)
	s_add_u32 s16, s24, s16
	s_addc_u32 s17, s25, s17
	s_load_b32 s8, s[16:17], 0x0
	s_waitcnt lgkmcnt(0)
	v_dual_mul_f32 v55, s8, v55 :: v_dual_mul_f32 v58, s8, v58
	v_dual_mul_f32 v57, s8, v57 :: v_dual_mul_f32 v56, s8, v56
.LBB2_24:
	s_and_not1_b32 vcc_lo, exec_lo, s2
	s_cbranch_vccnz .LBB2_26
; %bb.25:
	s_abs_i32 s8, s3
	s_delay_alu instid0(SALU_CYCLE_1) | instskip(SKIP_1) | instid1(VALU_DEP_1)
	v_cvt_f32_u32_e32 v0, s8
	s_sub_i32 s15, 0, s8
	v_rcp_iflag_f32_e32 v0, v0
	s_waitcnt_depctr 0xfff
	v_mul_f32_e32 v0, 0x4f7ffffe, v0
	s_delay_alu instid0(VALU_DEP_1) | instskip(NEXT) | instid1(VALU_DEP_1)
	v_cvt_u32_f32_e32 v0, v0
	v_readfirstlane_b32 s10, v0
	s_delay_alu instid0(VALU_DEP_1) | instskip(NEXT) | instid1(SALU_CYCLE_1)
	s_mul_i32 s15, s15, s10
	s_mul_hi_u32 s15, s10, s15
	s_delay_alu instid0(SALU_CYCLE_1)
	s_add_i32 s10, s10, s15
	s_ashr_i32 s15, s3, 31
	s_mul_hi_u32 s10, s9, s10
	s_xor_b32 s11, s11, s15
	s_mul_i32 s16, s10, s8
	s_add_i32 s15, s10, 1
	s_sub_i32 s9, s9, s16
	s_delay_alu instid0(SALU_CYCLE_1)
	s_sub_i32 s16, s9, s8
	s_cmp_ge_u32 s9, s8
	s_cselect_b32 s10, s15, s10
	s_cselect_b32 s9, s16, s9
	s_add_i32 s15, s10, 1
	s_cmp_ge_u32 s9, s8
	s_cselect_b32 s8, s15, s10
	s_delay_alu instid0(SALU_CYCLE_1) | instskip(NEXT) | instid1(SALU_CYCLE_1)
	s_xor_b32 s8, s8, s11
	s_sub_i32 s10, s8, s11
.LBB2_26:
	s_delay_alu instid0(SALU_CYCLE_1)
	s_ashr_i32 s8, s10, 31
	s_mul_hi_u32 s9, s0, s10
	s_mul_i32 s8, s0, s8
	s_mul_i32 s11, s1, s10
	s_add_i32 s9, s9, s8
	s_mul_i32 s8, s0, s10
	s_add_i32 s9, s9, s11
	v_cvt_f16_f32_e32 v0, v55
	s_lshl_b64 s[8:9], s[8:9], 1
	v_cvt_f16_f32_e32 v1, v58
	v_add_co_u32 v4, vcc_lo, v6, s8
	v_add_co_ci_u32_e32 v5, vcc_lo, s9, v7, vcc_lo
	v_cvt_f16_f32_e32 v10, v57
	v_cvt_f16_f32_e32 v11, v56
	v_pack_b32_f16 v9, v0, v1
	global_load_b64 v[2:3], v[4:5], off
	s_mov_b32 s8, 0
	v_pack_b32_f16 v10, v10, v11
.LBB2_27:                               ; =>This Inner Loop Header: Depth=1
	s_waitcnt vmcnt(0)
	v_pk_add_f16 v0, v9, v2
	s_delay_alu instid0(VALU_DEP_2)
	v_pk_add_f16 v1, v10, v3
	global_atomic_cmpswap_b64 v[0:1], v[4:5], v[0:3], off glc
	s_waitcnt vmcnt(0)
	v_cmp_eq_u64_e32 vcc_lo, v[0:1], v[2:3]
	v_dual_mov_b32 v3, v1 :: v_dual_mov_b32 v2, v0
	s_or_b32 s8, vcc_lo, s8
	s_delay_alu instid0(SALU_CYCLE_1)
	s_and_not1_b32 exec_lo, exec_lo, s8
	s_cbranch_execnz .LBB2_27
; %bb.28:
	s_or_b32 exec_lo, exec_lo, s8
.LBB2_29:
	s_load_b32 s8, s[6:7], 0x4
	s_waitcnt lgkmcnt(0)
	s_abs_i32 s10, s8
	s_ashr_i32 s9, s8, 31
	s_mul_hi_u32 s11, s10, s13
	s_xor_b32 s16, s9, s12
	s_mul_i32 s15, s11, s5
	s_add_i32 s17, s11, 1
	s_sub_i32 s15, s10, s15
	s_delay_alu instid0(SALU_CYCLE_1)
	s_sub_i32 s18, s15, s5
	s_cmp_ge_u32 s15, s5
	s_cselect_b32 s11, s17, s11
	s_cselect_b32 s15, s18, s15
	s_add_i32 s17, s11, 1
	s_cmp_ge_u32 s15, s5
	s_cselect_b32 s11, s17, s11
	s_delay_alu instid0(SALU_CYCLE_1) | instskip(NEXT) | instid1(SALU_CYCLE_1)
	s_xor_b32 s11, s11, s16
	s_sub_i32 s11, s11, s16
	s_delay_alu instid0(SALU_CYCLE_1)
	s_cmp_ge_i32 s11, s4
	s_cbranch_scc1 .LBB2_37
; %bb.30:
	s_and_not1_b32 vcc_lo, exec_lo, s14
	s_cbranch_vccnz .LBB2_32
; %bb.31:
	s_lshl_b64 s[14:15], s[8:9], 2
	s_delay_alu instid0(SALU_CYCLE_1)
	s_add_u32 s14, s24, s14
	s_addc_u32 s15, s25, s15
	s_load_b32 s11, s[14:15], 0x0
	s_waitcnt lgkmcnt(0)
	v_dual_mul_f32 v47, s11, v47 :: v_dual_mul_f32 v46, s11, v46
	v_mul_f32_e32 v54, s11, v54
	v_mul_f32_e32 v50, s11, v50
.LBB2_32:
	s_and_not1_b32 vcc_lo, exec_lo, s2
	s_cbranch_vccnz .LBB2_34
; %bb.33:
	s_abs_i32 s8, s3
	s_delay_alu instid0(SALU_CYCLE_1) | instskip(SKIP_1) | instid1(VALU_DEP_1)
	v_cvt_f32_u32_e32 v0, s8
	s_sub_i32 s14, 0, s8
	v_rcp_iflag_f32_e32 v0, v0
	s_waitcnt_depctr 0xfff
	v_mul_f32_e32 v0, 0x4f7ffffe, v0
	s_delay_alu instid0(VALU_DEP_1) | instskip(NEXT) | instid1(VALU_DEP_1)
	v_cvt_u32_f32_e32 v0, v0
	v_readfirstlane_b32 s11, v0
	s_delay_alu instid0(VALU_DEP_1) | instskip(NEXT) | instid1(SALU_CYCLE_1)
	s_mul_i32 s14, s14, s11
	s_mul_hi_u32 s14, s11, s14
	s_delay_alu instid0(SALU_CYCLE_1)
	s_add_i32 s11, s11, s14
	s_ashr_i32 s14, s3, 31
	s_mul_hi_u32 s11, s10, s11
	s_xor_b32 s9, s9, s14
	s_mul_i32 s15, s11, s8
	s_add_i32 s14, s11, 1
	s_sub_i32 s10, s10, s15
	s_delay_alu instid0(SALU_CYCLE_1)
	s_sub_i32 s15, s10, s8
	s_cmp_ge_u32 s10, s8
	s_cselect_b32 s11, s14, s11
	s_cselect_b32 s10, s15, s10
	s_add_i32 s14, s11, 1
	s_cmp_ge_u32 s10, s8
	s_cselect_b32 s8, s14, s11
	s_delay_alu instid0(SALU_CYCLE_1) | instskip(NEXT) | instid1(SALU_CYCLE_1)
	s_xor_b32 s8, s8, s9
	s_sub_i32 s8, s8, s9
.LBB2_34:
	s_delay_alu instid0(SALU_CYCLE_1)
	s_ashr_i32 s9, s8, 31
	s_mul_hi_u32 s10, s0, s8
	s_mul_i32 s9, s0, s9
	s_mul_i32 s11, s1, s8
	s_add_i32 s9, s10, s9
	s_mul_i32 s8, s0, s8
	s_add_i32 s9, s9, s11
	v_cvt_f16_f32_e32 v0, v47
	s_lshl_b64 s[8:9], s[8:9], 1
	v_cvt_f16_f32_e32 v1, v46
	v_add_co_u32 v4, vcc_lo, v6, s8
	v_add_co_ci_u32_e32 v5, vcc_lo, s9, v7, vcc_lo
	v_cvt_f16_f32_e32 v10, v54
	v_cvt_f16_f32_e32 v11, v50
	v_pack_b32_f16 v9, v0, v1
	global_load_b64 v[2:3], v[4:5], off
	s_mov_b32 s8, 0
	v_pack_b32_f16 v10, v10, v11
.LBB2_35:                               ; =>This Inner Loop Header: Depth=1
	s_waitcnt vmcnt(0)
	v_pk_add_f16 v0, v9, v2
	s_delay_alu instid0(VALU_DEP_2)
	v_pk_add_f16 v1, v10, v3
	global_atomic_cmpswap_b64 v[0:1], v[4:5], v[0:3], off glc
	s_waitcnt vmcnt(0)
	v_cmp_eq_u64_e32 vcc_lo, v[0:1], v[2:3]
	v_dual_mov_b32 v3, v1 :: v_dual_mov_b32 v2, v0
	s_or_b32 s8, vcc_lo, s8
	s_delay_alu instid0(SALU_CYCLE_1)
	s_and_not1_b32 exec_lo, exec_lo, s8
	s_cbranch_execnz .LBB2_35
; %bb.36:
	s_or_b32 exec_lo, exec_lo, s8
.LBB2_37:
	s_load_b32 s8, s[6:7], 0x8
	s_waitcnt lgkmcnt(0)
	s_abs_i32 s10, s8
	s_ashr_i32 s9, s8, 31
	s_mul_hi_u32 s11, s10, s13
	s_xor_b32 s15, s9, s12
	s_mul_i32 s14, s11, s5
	s_add_i32 s16, s11, 1
	s_sub_i32 s14, s10, s14
	s_delay_alu instid0(SALU_CYCLE_1)
	s_sub_i32 s17, s14, s5
	s_cmp_ge_u32 s14, s5
	s_cselect_b32 s11, s16, s11
	s_cselect_b32 s14, s17, s14
	s_add_i32 s16, s11, 1
	s_cmp_ge_u32 s14, s5
	s_cselect_b32 s11, s16, s11
	s_delay_alu instid0(SALU_CYCLE_1) | instskip(NEXT) | instid1(SALU_CYCLE_1)
	s_xor_b32 s11, s11, s15
	s_sub_i32 s11, s11, s15
	s_delay_alu instid0(SALU_CYCLE_1)
	s_cmp_ge_i32 s11, s4
	s_cbranch_scc1 .LBB2_45
; %bb.38:
	v_cmp_ne_u32_e32 vcc_lo, 1, v8
	s_cbranch_vccnz .LBB2_40
; %bb.39:
	s_lshl_b64 s[14:15], s[8:9], 2
	s_delay_alu instid0(SALU_CYCLE_1)
	s_add_u32 s14, s24, s14
	s_addc_u32 s15, s25, s15
	s_load_b32 s11, s[14:15], 0x0
	s_waitcnt lgkmcnt(0)
	v_dual_mul_f32 v33, s11, v33 :: v_dual_mul_f32 v32, s11, v32
	v_dual_mul_f32 v31, s11, v31 :: v_dual_mul_f32 v38, s11, v38
.LBB2_40:
	s_and_not1_b32 vcc_lo, exec_lo, s2
	s_cbranch_vccnz .LBB2_42
; %bb.41:
	s_abs_i32 s8, s3
	s_delay_alu instid0(SALU_CYCLE_1) | instskip(SKIP_1) | instid1(VALU_DEP_1)
	v_cvt_f32_u32_e32 v0, s8
	s_sub_i32 s14, 0, s8
	v_rcp_iflag_f32_e32 v0, v0
	s_waitcnt_depctr 0xfff
	v_mul_f32_e32 v0, 0x4f7ffffe, v0
	s_delay_alu instid0(VALU_DEP_1) | instskip(NEXT) | instid1(VALU_DEP_1)
	v_cvt_u32_f32_e32 v0, v0
	v_readfirstlane_b32 s11, v0
	s_delay_alu instid0(VALU_DEP_1) | instskip(NEXT) | instid1(SALU_CYCLE_1)
	s_mul_i32 s14, s14, s11
	s_mul_hi_u32 s14, s11, s14
	s_delay_alu instid0(SALU_CYCLE_1)
	s_add_i32 s11, s11, s14
	s_ashr_i32 s14, s3, 31
	s_mul_hi_u32 s11, s10, s11
	s_xor_b32 s9, s9, s14
	s_mul_i32 s15, s11, s8
	s_add_i32 s14, s11, 1
	s_sub_i32 s10, s10, s15
	s_delay_alu instid0(SALU_CYCLE_1)
	s_sub_i32 s15, s10, s8
	s_cmp_ge_u32 s10, s8
	s_cselect_b32 s11, s14, s11
	s_cselect_b32 s10, s15, s10
	s_add_i32 s14, s11, 1
	s_cmp_ge_u32 s10, s8
	s_cselect_b32 s8, s14, s11
	s_delay_alu instid0(SALU_CYCLE_1) | instskip(NEXT) | instid1(SALU_CYCLE_1)
	s_xor_b32 s8, s8, s9
	s_sub_i32 s8, s8, s9
.LBB2_42:
	s_delay_alu instid0(SALU_CYCLE_1)
	s_ashr_i32 s9, s8, 31
	s_mul_hi_u32 s10, s0, s8
	s_mul_i32 s9, s0, s9
	s_mul_i32 s11, s1, s8
	s_add_i32 s9, s10, s9
	s_mul_i32 s8, s0, s8
	s_add_i32 s9, s9, s11
	v_cvt_f16_f32_e32 v0, v33
	s_lshl_b64 s[8:9], s[8:9], 1
	v_cvt_f16_f32_e32 v1, v32
	v_add_co_u32 v4, vcc_lo, v6, s8
	v_add_co_ci_u32_e32 v5, vcc_lo, s9, v7, vcc_lo
	v_cvt_f16_f32_e32 v10, v31
	v_cvt_f16_f32_e32 v11, v38
	v_pack_b32_f16 v9, v0, v1
	global_load_b64 v[2:3], v[4:5], off
	s_mov_b32 s8, 0
	v_pack_b32_f16 v10, v10, v11
.LBB2_43:                               ; =>This Inner Loop Header: Depth=1
	s_waitcnt vmcnt(0)
	v_pk_add_f16 v0, v9, v2
	s_delay_alu instid0(VALU_DEP_2)
	v_pk_add_f16 v1, v10, v3
	global_atomic_cmpswap_b64 v[0:1], v[4:5], v[0:3], off glc
	s_waitcnt vmcnt(0)
	v_cmp_eq_u64_e32 vcc_lo, v[0:1], v[2:3]
	v_dual_mov_b32 v3, v1 :: v_dual_mov_b32 v2, v0
	s_or_b32 s8, vcc_lo, s8
	s_delay_alu instid0(SALU_CYCLE_1)
	s_and_not1_b32 exec_lo, exec_lo, s8
	s_cbranch_execnz .LBB2_43
; %bb.44:
	s_or_b32 exec_lo, exec_lo, s8
.LBB2_45:
	s_load_b32 s6, s[6:7], 0xc
	s_waitcnt lgkmcnt(0)
	s_abs_i32 s8, s6
	s_ashr_i32 s7, s6, 31
	s_mul_hi_u32 s9, s8, s13
	s_xor_b32 s11, s7, s12
	s_mul_i32 s10, s9, s5
	s_add_i32 s12, s9, 1
	s_sub_i32 s10, s8, s10
	s_delay_alu instid0(SALU_CYCLE_1)
	s_sub_i32 s13, s10, s5
	s_cmp_ge_u32 s10, s5
	s_cselect_b32 s9, s12, s9
	s_cselect_b32 s10, s13, s10
	s_add_i32 s12, s9, 1
	s_cmp_ge_u32 s10, s5
	s_cselect_b32 s5, s12, s9
	s_delay_alu instid0(SALU_CYCLE_1) | instskip(NEXT) | instid1(SALU_CYCLE_1)
	s_xor_b32 s5, s5, s11
	s_sub_i32 s5, s5, s11
	s_delay_alu instid0(SALU_CYCLE_1)
	s_cmp_ge_i32 s5, s4
	s_cbranch_scc1 .LBB2_52
; %bb.46:
	v_cmp_ne_u32_e32 vcc_lo, 1, v8
	s_cbranch_vccnz .LBB2_48
; %bb.47:
	s_lshl_b64 s[4:5], s[6:7], 2
	s_delay_alu instid0(SALU_CYCLE_1)
	s_add_u32 s4, s24, s4
	s_addc_u32 s5, s25, s5
	s_load_b32 s4, s[4:5], 0x0
	s_waitcnt lgkmcnt(0)
	v_dual_mul_f32 v25, s4, v25 :: v_dual_mul_f32 v24, s4, v24
	v_dual_mul_f32 v22, s4, v22 :: v_dual_mul_f32 v23, s4, v23
.LBB2_48:
	s_and_not1_b32 vcc_lo, exec_lo, s2
	s_cbranch_vccnz .LBB2_50
; %bb.49:
	s_abs_i32 s2, s3
	s_ashr_i32 s3, s3, 31
	v_cvt_f32_u32_e32 v0, s2
	s_sub_i32 s5, 0, s2
	s_xor_b32 s3, s7, s3
	s_delay_alu instid0(VALU_DEP_1) | instskip(SKIP_2) | instid1(VALU_DEP_1)
	v_rcp_iflag_f32_e32 v0, v0
	s_waitcnt_depctr 0xfff
	v_mul_f32_e32 v0, 0x4f7ffffe, v0
	v_cvt_u32_f32_e32 v0, v0
	s_delay_alu instid0(VALU_DEP_1) | instskip(NEXT) | instid1(VALU_DEP_1)
	v_readfirstlane_b32 s4, v0
	s_mul_i32 s5, s5, s4
	s_delay_alu instid0(SALU_CYCLE_1) | instskip(NEXT) | instid1(SALU_CYCLE_1)
	s_mul_hi_u32 s5, s4, s5
	s_add_i32 s4, s4, s5
	s_delay_alu instid0(SALU_CYCLE_1) | instskip(NEXT) | instid1(SALU_CYCLE_1)
	s_mul_hi_u32 s4, s8, s4
	s_mul_i32 s5, s4, s2
	s_add_i32 s6, s4, 1
	s_sub_i32 s5, s8, s5
	s_delay_alu instid0(SALU_CYCLE_1)
	s_sub_i32 s7, s5, s2
	s_cmp_ge_u32 s5, s2
	s_cselect_b32 s4, s6, s4
	s_cselect_b32 s5, s7, s5
	s_add_i32 s6, s4, 1
	s_cmp_ge_u32 s5, s2
	s_cselect_b32 s2, s6, s4
	s_delay_alu instid0(SALU_CYCLE_1) | instskip(NEXT) | instid1(SALU_CYCLE_1)
	s_xor_b32 s2, s2, s3
	s_sub_i32 s6, s2, s3
.LBB2_50:
	s_delay_alu instid0(SALU_CYCLE_1)
	s_ashr_i32 s2, s6, 31
	s_mul_hi_u32 s3, s0, s6
	s_mul_i32 s2, s0, s2
	s_mul_i32 s1, s1, s6
	s_add_i32 s2, s3, s2
	s_mul_i32 s0, s0, s6
	s_add_i32 s1, s2, s1
	v_cvt_f16_f32_e32 v0, v25
	s_lshl_b64 s[0:1], s[0:1], 1
	v_cvt_f16_f32_e32 v1, v24
	v_add_co_u32 v4, vcc_lo, v6, s0
	v_add_co_ci_u32_e32 v5, vcc_lo, s1, v7, vcc_lo
	v_cvt_f16_f32_e32 v7, v22
	v_cvt_f16_f32_e32 v8, v23
	v_pack_b32_f16 v6, v0, v1
	global_load_b64 v[2:3], v[4:5], off
	s_mov_b32 s0, 0
	v_pack_b32_f16 v7, v7, v8
.LBB2_51:                               ; =>This Inner Loop Header: Depth=1
	s_waitcnt vmcnt(0)
	v_pk_add_f16 v0, v6, v2
	s_delay_alu instid0(VALU_DEP_2)
	v_pk_add_f16 v1, v7, v3
	global_atomic_cmpswap_b64 v[0:1], v[4:5], v[0:3], off glc
	s_waitcnt vmcnt(0)
	v_cmp_eq_u64_e32 vcc_lo, v[0:1], v[2:3]
	v_dual_mov_b32 v3, v1 :: v_dual_mov_b32 v2, v0
	s_or_b32 s0, vcc_lo, s0
	s_delay_alu instid0(SALU_CYCLE_1)
	s_and_not1_b32 exec_lo, exec_lo, s0
	s_cbranch_execnz .LBB2_51
.LBB2_52:
	s_endpgm
	.section	.rodata,"a",@progbits
	.p2align	6, 0x0
	.amdhsa_kernel _ZN4vllm14moe_gptq_rdna324moe_gemm_q4_kernel_rdna3I6__halfLi4EEEvPKT_PS3_PKjS5_S8_PKfPKiSC_SC_iiiiiiiibi
		.amdhsa_group_segment_fixed_size 2112
		.amdhsa_private_segment_fixed_size 0
		.amdhsa_kernarg_size 112
		.amdhsa_user_sgpr_count 13
		.amdhsa_user_sgpr_dispatch_ptr 0
		.amdhsa_user_sgpr_queue_ptr 0
		.amdhsa_user_sgpr_kernarg_segment_ptr 1
		.amdhsa_user_sgpr_dispatch_id 0
		.amdhsa_user_sgpr_private_segment_size 0
		.amdhsa_wavefront_size32 1
		.amdhsa_uses_dynamic_stack 0
		.amdhsa_enable_private_segment 0
		.amdhsa_system_sgpr_workgroup_id_x 1
		.amdhsa_system_sgpr_workgroup_id_y 1
		.amdhsa_system_sgpr_workgroup_id_z 1
		.amdhsa_system_sgpr_workgroup_info 0
		.amdhsa_system_vgpr_workitem_id 0
		.amdhsa_next_free_vgpr 107
		.amdhsa_next_free_sgpr 41
		.amdhsa_reserve_vcc 1
		.amdhsa_float_round_mode_32 0
		.amdhsa_float_round_mode_16_64 0
		.amdhsa_float_denorm_mode_32 3
		.amdhsa_float_denorm_mode_16_64 3
		.amdhsa_dx10_clamp 1
		.amdhsa_ieee_mode 1
		.amdhsa_fp16_overflow 0
		.amdhsa_workgroup_processor_mode 1
		.amdhsa_memory_ordered 1
		.amdhsa_forward_progress 0
		.amdhsa_shared_vgpr_count 0
		.amdhsa_exception_fp_ieee_invalid_op 0
		.amdhsa_exception_fp_denorm_src 0
		.amdhsa_exception_fp_ieee_div_zero 0
		.amdhsa_exception_fp_ieee_overflow 0
		.amdhsa_exception_fp_ieee_underflow 0
		.amdhsa_exception_fp_ieee_inexact 0
		.amdhsa_exception_int_div_zero 0
	.end_amdhsa_kernel
	.section	.text._ZN4vllm14moe_gptq_rdna324moe_gemm_q4_kernel_rdna3I6__halfLi4EEEvPKT_PS3_PKjS5_S8_PKfPKiSC_SC_iiiiiiiibi,"axG",@progbits,_ZN4vllm14moe_gptq_rdna324moe_gemm_q4_kernel_rdna3I6__halfLi4EEEvPKT_PS3_PKjS5_S8_PKfPKiSC_SC_iiiiiiiibi,comdat
.Lfunc_end2:
	.size	_ZN4vllm14moe_gptq_rdna324moe_gemm_q4_kernel_rdna3I6__halfLi4EEEvPKT_PS3_PKjS5_S8_PKfPKiSC_SC_iiiiiiiibi, .Lfunc_end2-_ZN4vllm14moe_gptq_rdna324moe_gemm_q4_kernel_rdna3I6__halfLi4EEEvPKT_PS3_PKjS5_S8_PKfPKiSC_SC_iiiiiiiibi
                                        ; -- End function
	.section	.AMDGPU.csdata,"",@progbits
; Kernel info:
; codeLenInByte = 7972
; NumSgprs: 43
; NumVgprs: 107
; ScratchSize: 0
; MemoryBound: 0
; FloatMode: 240
; IeeeMode: 1
; LDSByteSize: 2112 bytes/workgroup (compile time only)
; SGPRBlocks: 5
; VGPRBlocks: 13
; NumSGPRsForWavesPerEU: 43
; NumVGPRsForWavesPerEU: 107
; Occupancy: 12
; WaveLimiterHint : 1
; COMPUTE_PGM_RSRC2:SCRATCH_EN: 0
; COMPUTE_PGM_RSRC2:USER_SGPR: 13
; COMPUTE_PGM_RSRC2:TRAP_HANDLER: 0
; COMPUTE_PGM_RSRC2:TGID_X_EN: 1
; COMPUTE_PGM_RSRC2:TGID_Y_EN: 1
; COMPUTE_PGM_RSRC2:TGID_Z_EN: 1
; COMPUTE_PGM_RSRC2:TIDIG_COMP_CNT: 0
	.section	.text._ZN4vllm14moe_gptq_rdna324moe_gemm_q4_kernel_rdna3I6__halfLi8EEEvPKT_PS3_PKjS5_S8_PKfPKiSC_SC_iiiiiiiibi,"axG",@progbits,_ZN4vllm14moe_gptq_rdna324moe_gemm_q4_kernel_rdna3I6__halfLi8EEEvPKT_PS3_PKjS5_S8_PKfPKiSC_SC_iiiiiiiibi,comdat
	.protected	_ZN4vllm14moe_gptq_rdna324moe_gemm_q4_kernel_rdna3I6__halfLi8EEEvPKT_PS3_PKjS5_S8_PKfPKiSC_SC_iiiiiiiibi ; -- Begin function _ZN4vllm14moe_gptq_rdna324moe_gemm_q4_kernel_rdna3I6__halfLi8EEEvPKT_PS3_PKjS5_S8_PKfPKiSC_SC_iiiiiiiibi
	.globl	_ZN4vllm14moe_gptq_rdna324moe_gemm_q4_kernel_rdna3I6__halfLi8EEEvPKT_PS3_PKjS5_S8_PKfPKiSC_SC_iiiiiiiibi
	.p2align	8
	.type	_ZN4vllm14moe_gptq_rdna324moe_gemm_q4_kernel_rdna3I6__halfLi8EEEvPKT_PS3_PKjS5_S8_PKfPKiSC_SC_iiiiiiiibi,@function
_ZN4vllm14moe_gptq_rdna324moe_gemm_q4_kernel_rdna3I6__halfLi8EEEvPKT_PS3_PKjS5_S8_PKfPKiSC_SC_iiiiiiiibi: ; @_ZN4vllm14moe_gptq_rdna324moe_gemm_q4_kernel_rdna3I6__halfLi8EEEvPKT_PS3_PKjS5_S8_PKfPKiSC_SC_iiiiiiiibi
; %bb.0:
	s_load_b64 s[4:5], s[0:1], 0x40
	s_lshl_b32 s12, s13, 3
	s_waitcnt lgkmcnt(0)
	s_load_b32 s3, s[4:5], 0x0
	s_waitcnt lgkmcnt(0)
	s_cmp_ge_i32 s12, s3
	s_cbranch_scc1 .LBB3_92
; %bb.1:
	s_load_b64 s[4:5], s[0:1], 0x38
	s_mov_b32 s2, s13
	s_ashr_i32 s3, s13, 31
	s_delay_alu instid0(SALU_CYCLE_1)
	s_lshl_b64 s[2:3], s[2:3], 2
	s_waitcnt lgkmcnt(0)
	s_add_u32 s2, s4, s2
	s_addc_u32 s3, s5, s3
	s_load_b32 s30, s[2:3], 0x0
	s_waitcnt lgkmcnt(0)
	s_cmp_eq_u32 s30, -1
	s_cbranch_scc1 .LBB3_92
; %bb.2:
	s_clause 0x3
	s_load_b256 s[4:11], s[0:1], 0x48
	s_load_b256 s[16:23], s[0:1], 0x8
	s_load_b128 s[24:27], s[0:1], 0x28
	s_load_b64 s[2:3], s[0:1], 0x68
	s_lshl_b32 s28, s15, 8
	s_mov_b32 s31, exec_lo
	v_add_nc_u32_e32 v1, s28, v0
	s_add_i32 s13, s28, 0x100
	s_waitcnt lgkmcnt(0)
	s_min_i32 s15, s13, s6
	s_delay_alu instid0(VALU_DEP_1) | instid1(SALU_CYCLE_1)
	v_cmpx_gt_i32_e64 s15, v1
	s_cbranch_execz .LBB3_20
; %bb.3:
	s_load_b64 s[0:1], s[0:1], 0x0
	s_ashr_i32 s29, s28, 31
	v_mov_b32_e32 v5, 0
	s_lshl_b64 s[34:35], s[28:29], 1
	v_mov_b32_e32 v4, 0
	s_waitcnt lgkmcnt(0)
	s_add_u32 s34, s0, s34
	s_addc_u32 s35, s1, s35
	s_ashr_i32 s13, s12, 31
	s_delay_alu instid0(SALU_CYCLE_1) | instskip(NEXT) | instid1(SALU_CYCLE_1)
	s_lshl_b64 s[0:1], s[12:13], 2
	s_add_u32 s0, s26, s0
	s_addc_u32 s1, s27, s1
	s_abs_i32 s13, s8
	s_load_b32 s36, s[0:1], 0x0
	v_cvt_f32_u32_e32 v1, s13
	s_sub_i32 s29, 0, s13
	s_delay_alu instid0(VALU_DEP_1) | instskip(SKIP_4) | instid1(VALU_DEP_1)
	v_rcp_iflag_f32_e32 v1, v1
	s_waitcnt_depctr 0xfff
	v_mul_f32_e32 v1, 0x4f7ffffe, v1
	s_waitcnt lgkmcnt(0)
	s_abs_i32 s37, s36
	v_cvt_u32_f32_e32 v1, v1
	s_ashr_i32 s36, s36, 31
	s_delay_alu instid0(VALU_DEP_1) | instskip(SKIP_1) | instid1(VALU_DEP_2)
	v_readfirstlane_b32 s33, v1
	v_lshlrev_b32_e32 v1, 1, v0
	s_mul_i32 s29, s29, s33
	s_delay_alu instid0(VALU_DEP_1)
	v_add_co_u32 v2, s34, s34, v1
	s_mul_hi_u32 s29, s33, s29
	v_add_co_ci_u32_e64 v3, null, s35, 0, s34
	s_add_i32 s33, s33, s29
	s_ashr_i32 s29, s8, 31
	s_mul_hi_u32 s38, s37, s33
	s_xor_b32 s36, s36, s29
	s_mul_i32 s39, s38, s13
	s_delay_alu instid0(SALU_CYCLE_1)
	s_sub_i32 s37, s37, s39
	s_add_i32 s39, s38, 1
	s_sub_i32 s40, s37, s13
	s_cmp_ge_u32 s37, s13
	s_cselect_b32 s38, s39, s38
	s_cselect_b32 s37, s40, s37
	s_add_i32 s39, s38, 1
	s_cmp_ge_u32 s37, s13
	s_cselect_b32 s37, s39, s38
	s_delay_alu instid0(SALU_CYCLE_1) | instskip(NEXT) | instid1(SALU_CYCLE_1)
	s_xor_b32 s37, s37, s36
	s_sub_i32 s34, s37, s36
	s_delay_alu instid0(SALU_CYCLE_1)
	s_cmp_ge_i32 s34, s4
	s_cbranch_scc1 .LBB3_5
; %bb.4:
	s_mul_hi_i32 s35, s34, s6
	s_mul_i32 s34, s34, s6
	s_delay_alu instid0(SALU_CYCLE_1) | instskip(NEXT) | instid1(SALU_CYCLE_1)
	s_lshl_b64 s[34:35], s[34:35], 1
	v_add_co_u32 v5, vcc_lo, v2, s34
	v_add_co_ci_u32_e32 v6, vcc_lo, s35, v3, vcc_lo
	global_load_u16 v5, v[5:6], off
.LBB3_5:
	s_load_b32 s34, s[0:1], 0x4
	s_waitcnt vmcnt(0)
	ds_store_b16 v1, v5
	s_waitcnt lgkmcnt(0)
	s_abs_i32 s35, s34
	s_ashr_i32 s34, s34, 31
	s_mul_hi_u32 s36, s35, s33
	s_xor_b32 s34, s34, s29
	s_mul_i32 s37, s36, s13
	s_delay_alu instid0(SALU_CYCLE_1)
	s_sub_i32 s35, s35, s37
	s_add_i32 s37, s36, 1
	s_sub_i32 s38, s35, s13
	s_cmp_ge_u32 s35, s13
	s_cselect_b32 s36, s37, s36
	s_cselect_b32 s35, s38, s35
	s_add_i32 s37, s36, 1
	s_cmp_ge_u32 s35, s13
	s_cselect_b32 s35, s37, s36
	s_delay_alu instid0(SALU_CYCLE_1) | instskip(NEXT) | instid1(SALU_CYCLE_1)
	s_xor_b32 s35, s35, s34
	s_sub_i32 s34, s35, s34
	s_delay_alu instid0(SALU_CYCLE_1)
	s_cmp_ge_i32 s34, s4
	s_cbranch_scc1 .LBB3_7
; %bb.6:
	s_mul_hi_i32 s35, s34, s6
	s_mul_i32 s34, s34, s6
	s_delay_alu instid0(SALU_CYCLE_1) | instskip(NEXT) | instid1(SALU_CYCLE_1)
	s_lshl_b64 s[34:35], s[34:35], 1
	v_add_co_u32 v4, vcc_lo, v2, s34
	v_add_co_ci_u32_e32 v5, vcc_lo, s35, v3, vcc_lo
	global_load_u16 v4, v[4:5], off
.LBB3_7:
	s_load_b32 s34, s[0:1], 0x8
	v_dual_mov_b32 v5, 0 :: v_dual_mov_b32 v6, 0
	s_waitcnt vmcnt(0)
	ds_store_b16 v1, v4 offset:528
	s_waitcnt lgkmcnt(0)
	s_abs_i32 s35, s34
	s_ashr_i32 s34, s34, 31
	s_mul_hi_u32 s36, s35, s33
	s_xor_b32 s34, s34, s29
	s_mul_i32 s37, s36, s13
	s_delay_alu instid0(SALU_CYCLE_1)
	s_sub_i32 s35, s35, s37
	s_add_i32 s37, s36, 1
	s_sub_i32 s38, s35, s13
	s_cmp_ge_u32 s35, s13
	s_cselect_b32 s36, s37, s36
	s_cselect_b32 s35, s38, s35
	s_add_i32 s37, s36, 1
	s_cmp_ge_u32 s35, s13
	s_cselect_b32 s35, s37, s36
	s_delay_alu instid0(SALU_CYCLE_1) | instskip(NEXT) | instid1(SALU_CYCLE_1)
	s_xor_b32 s35, s35, s34
	s_sub_i32 s34, s35, s34
	s_delay_alu instid0(SALU_CYCLE_1)
	s_cmp_ge_i32 s34, s4
	s_cbranch_scc1 .LBB3_9
; %bb.8:
	s_mul_hi_i32 s35, s34, s6
	s_mul_i32 s34, s34, s6
	s_delay_alu instid0(SALU_CYCLE_1) | instskip(NEXT) | instid1(SALU_CYCLE_1)
	s_lshl_b64 s[34:35], s[34:35], 1
	v_add_co_u32 v6, vcc_lo, v2, s34
	v_add_co_ci_u32_e32 v7, vcc_lo, s35, v3, vcc_lo
	global_load_u16 v6, v[6:7], off
.LBB3_9:
	s_load_b32 s34, s[0:1], 0xc
	s_waitcnt vmcnt(0)
	ds_store_b16 v1, v6 offset:1056
	s_waitcnt lgkmcnt(0)
	s_abs_i32 s35, s34
	s_ashr_i32 s34, s34, 31
	s_mul_hi_u32 s36, s35, s33
	s_xor_b32 s34, s34, s29
	s_mul_i32 s37, s36, s13
	s_delay_alu instid0(SALU_CYCLE_1)
	s_sub_i32 s35, s35, s37
	s_add_i32 s37, s36, 1
	s_sub_i32 s38, s35, s13
	s_cmp_ge_u32 s35, s13
	s_cselect_b32 s36, s37, s36
	s_cselect_b32 s35, s38, s35
	s_add_i32 s37, s36, 1
	s_cmp_ge_u32 s35, s13
	s_cselect_b32 s35, s37, s36
	s_delay_alu instid0(SALU_CYCLE_1) | instskip(NEXT) | instid1(SALU_CYCLE_1)
	s_xor_b32 s35, s35, s34
	s_sub_i32 s34, s35, s34
	s_delay_alu instid0(SALU_CYCLE_1)
	s_cmp_ge_i32 s34, s4
	s_cbranch_scc1 .LBB3_11
; %bb.10:
	s_mul_hi_i32 s35, s34, s6
	s_mul_i32 s34, s34, s6
	s_delay_alu instid0(SALU_CYCLE_1) | instskip(NEXT) | instid1(SALU_CYCLE_1)
	s_lshl_b64 s[34:35], s[34:35], 1
	v_add_co_u32 v4, vcc_lo, v2, s34
	v_add_co_ci_u32_e32 v5, vcc_lo, s35, v3, vcc_lo
	global_load_u16 v5, v[4:5], off
.LBB3_11:
	s_load_b32 s34, s[0:1], 0x10
	v_mov_b32_e32 v4, 0
	v_mov_b32_e32 v6, 0
	s_waitcnt vmcnt(0)
	ds_store_b16 v1, v5 offset:1584
	s_waitcnt lgkmcnt(0)
	s_abs_i32 s35, s34
	s_ashr_i32 s34, s34, 31
	s_mul_hi_u32 s36, s35, s33
	s_xor_b32 s34, s34, s29
	s_mul_i32 s37, s36, s13
	s_delay_alu instid0(SALU_CYCLE_1)
	s_sub_i32 s35, s35, s37
	s_add_i32 s37, s36, 1
	s_sub_i32 s38, s35, s13
	s_cmp_ge_u32 s35, s13
	s_cselect_b32 s36, s37, s36
	s_cselect_b32 s35, s38, s35
	s_add_i32 s37, s36, 1
	s_cmp_ge_u32 s35, s13
	s_cselect_b32 s35, s37, s36
	s_delay_alu instid0(SALU_CYCLE_1) | instskip(NEXT) | instid1(SALU_CYCLE_1)
	s_xor_b32 s35, s35, s34
	s_sub_i32 s34, s35, s34
	s_delay_alu instid0(SALU_CYCLE_1)
	s_cmp_ge_i32 s34, s4
	s_cbranch_scc1 .LBB3_13
; %bb.12:
	s_mul_hi_i32 s35, s34, s6
	s_mul_i32 s34, s34, s6
	s_delay_alu instid0(SALU_CYCLE_1) | instskip(NEXT) | instid1(SALU_CYCLE_1)
	s_lshl_b64 s[34:35], s[34:35], 1
	v_add_co_u32 v5, vcc_lo, v2, s34
	v_add_co_ci_u32_e32 v6, vcc_lo, s35, v3, vcc_lo
	global_load_u16 v6, v[5:6], off
.LBB3_13:
	s_load_b32 s34, s[0:1], 0x14
	s_waitcnt vmcnt(0)
	ds_store_b16 v1, v6 offset:2112
	s_waitcnt lgkmcnt(0)
	s_abs_i32 s35, s34
	s_ashr_i32 s34, s34, 31
	s_mul_hi_u32 s36, s35, s33
	s_xor_b32 s34, s34, s29
	s_mul_i32 s37, s36, s13
	s_delay_alu instid0(SALU_CYCLE_1)
	s_sub_i32 s35, s35, s37
	s_add_i32 s37, s36, 1
	s_sub_i32 s38, s35, s13
	s_cmp_ge_u32 s35, s13
	s_cselect_b32 s36, s37, s36
	s_cselect_b32 s35, s38, s35
	s_add_i32 s37, s36, 1
	s_cmp_ge_u32 s35, s13
	s_cselect_b32 s35, s37, s36
	s_delay_alu instid0(SALU_CYCLE_1) | instskip(NEXT) | instid1(SALU_CYCLE_1)
	s_xor_b32 s35, s35, s34
	s_sub_i32 s34, s35, s34
	s_delay_alu instid0(SALU_CYCLE_1)
	s_cmp_ge_i32 s34, s4
	s_cbranch_scc1 .LBB3_15
; %bb.14:
	s_mul_hi_i32 s35, s34, s6
	s_mul_i32 s34, s34, s6
	s_delay_alu instid0(SALU_CYCLE_1) | instskip(NEXT) | instid1(SALU_CYCLE_1)
	s_lshl_b64 s[34:35], s[34:35], 1
	v_add_co_u32 v4, vcc_lo, v2, s34
	v_add_co_ci_u32_e32 v5, vcc_lo, s35, v3, vcc_lo
	global_load_u16 v4, v[4:5], off
.LBB3_15:
	s_load_b32 s34, s[0:1], 0x18
	v_dual_mov_b32 v5, 0 :: v_dual_mov_b32 v6, 0
	s_waitcnt vmcnt(0)
	ds_store_b16 v1, v4 offset:2640
	s_waitcnt lgkmcnt(0)
	s_abs_i32 s35, s34
	s_ashr_i32 s34, s34, 31
	s_mul_hi_u32 s36, s35, s33
	s_xor_b32 s34, s34, s29
	s_mul_i32 s37, s36, s13
	s_delay_alu instid0(SALU_CYCLE_1)
	s_sub_i32 s35, s35, s37
	s_add_i32 s37, s36, 1
	s_sub_i32 s38, s35, s13
	s_cmp_ge_u32 s35, s13
	s_cselect_b32 s36, s37, s36
	s_cselect_b32 s35, s38, s35
	s_add_i32 s37, s36, 1
	s_cmp_ge_u32 s35, s13
	s_cselect_b32 s35, s37, s36
	s_delay_alu instid0(SALU_CYCLE_1) | instskip(NEXT) | instid1(SALU_CYCLE_1)
	s_xor_b32 s35, s35, s34
	s_sub_i32 s34, s35, s34
	s_delay_alu instid0(SALU_CYCLE_1)
	s_cmp_ge_i32 s34, s4
	s_cbranch_scc1 .LBB3_17
; %bb.16:
	s_mul_hi_i32 s35, s34, s6
	s_mul_i32 s34, s34, s6
	s_delay_alu instid0(SALU_CYCLE_1) | instskip(NEXT) | instid1(SALU_CYCLE_1)
	s_lshl_b64 s[34:35], s[34:35], 1
	v_add_co_u32 v6, vcc_lo, v2, s34
	v_add_co_ci_u32_e32 v7, vcc_lo, s35, v3, vcc_lo
	global_load_u16 v6, v[6:7], off
.LBB3_17:
	s_load_b32 s0, s[0:1], 0x1c
	s_waitcnt vmcnt(0)
	ds_store_b16 v1, v6 offset:3168
	s_waitcnt lgkmcnt(0)
	s_abs_i32 s1, s0
	s_ashr_i32 s0, s0, 31
	s_mul_hi_u32 s33, s1, s33
	s_xor_b32 s0, s0, s29
	s_mul_i32 s34, s33, s13
	s_add_i32 s29, s33, 1
	s_sub_i32 s1, s1, s34
	s_delay_alu instid0(SALU_CYCLE_1)
	s_sub_i32 s34, s1, s13
	s_cmp_ge_u32 s1, s13
	s_cselect_b32 s29, s29, s33
	s_cselect_b32 s1, s34, s1
	s_add_i32 s33, s29, 1
	s_cmp_ge_u32 s1, s13
	s_cselect_b32 s1, s33, s29
	s_delay_alu instid0(SALU_CYCLE_1) | instskip(NEXT) | instid1(SALU_CYCLE_1)
	s_xor_b32 s1, s1, s0
	s_sub_i32 s0, s1, s0
	s_delay_alu instid0(SALU_CYCLE_1)
	s_cmp_ge_i32 s0, s4
	s_cbranch_scc1 .LBB3_19
; %bb.18:
	s_mul_hi_i32 s1, s0, s6
	s_mul_i32 s0, s0, s6
	s_delay_alu instid0(SALU_CYCLE_1) | instskip(NEXT) | instid1(SALU_CYCLE_1)
	s_lshl_b64 s[0:1], s[0:1], 1
	v_add_co_u32 v2, vcc_lo, v2, s0
	v_add_co_ci_u32_e32 v3, vcc_lo, s1, v3, vcc_lo
	global_load_u16 v5, v[2:3], off
.LBB3_19:
	s_waitcnt vmcnt(0)
	ds_store_b16 v1, v5 offset:3696
.LBB3_20:
	s_or_b32 exec_lo, exec_lo, s31
	v_lshlrev_b32_e32 v1, 2, v0
	s_waitcnt lgkmcnt(0)
	s_barrier
	buffer_gl0_inv
	s_mov_b32 s0, exec_lo
	v_lshl_add_u32 v1, s14, 10, v1
	s_delay_alu instid0(VALU_DEP_1)
	v_cmpx_gt_i32_e64 s5, v1
	s_cbranch_execz .LBB3_92
; %bb.21:
	s_abs_i32 s13, s7
	s_cmp_lt_i32 s28, s6
	v_cvt_f32_u32_e32 v2, s13
	s_mov_b32 s29, 0
	s_delay_alu instid0(VALU_DEP_1) | instskip(SKIP_2) | instid1(VALU_DEP_1)
	v_rcp_iflag_f32_e32 v2, v2
	s_waitcnt_depctr 0xfff
	v_mul_f32_e32 v2, 0x4f7ffffe, v2
	v_cvt_u32_f32_e32 v2, v2
	s_delay_alu instid0(VALU_DEP_1)
	v_readfirstlane_b32 s14, v2
	v_ashrrev_i32_e32 v2, 31, v1
	s_cbranch_scc1 .LBB3_23
; %bb.22:
	s_ashr_i32 s1, s5, 31
	s_mov_b32 s0, s5
	s_mov_b32 s31, 0
	s_branch .LBB3_24
.LBB3_23:
	s_mov_b32 s29, -1
                                        ; implicit-def: $sgpr31
                                        ; implicit-def: $sgpr0_sgpr1
.LBB3_24:
	s_delay_alu instid0(VALU_DEP_1)
	v_lshlrev_b64 v[20:21], 1, v[1:2]
	v_dual_mov_b32 v77, s31 :: v_dual_mov_b32 v76, s31
	v_dual_mov_b32 v75, s31 :: v_dual_mov_b32 v74, s31
	;; [unrolled: 1-line block ×16, first 2 shown]
	s_and_not1_b32 vcc_lo, exec_lo, s29
	s_cbranch_vccnz .LBB3_29
; %bb.25:
	s_sub_i32 s0, 0, s13
	s_mul_hi_i32 s1, s30, s10
	s_mul_i32 s0, s0, s14
	s_abs_i32 s29, s6
	s_mul_hi_u32 s31, s14, s0
	s_mul_i32 s0, s30, s10
	s_add_i32 s14, s14, s31
	s_lshl_b64 s[0:1], s[0:1], 1
	s_ashr_i32 s31, s6, 31
	s_ashr_i32 s33, s7, 31
	s_mul_hi_i32 s35, s30, s11
	s_mul_i32 s34, s30, s11
	s_add_u32 s6, s20, s0
	s_addc_u32 s7, s21, s1
	s_lshl_b64 s[0:1], s[34:35], 2
	s_mul_hi_u32 s14, s29, s14
	s_add_u32 s10, s22, s0
	s_mul_i32 s0, s14, s13
	s_addc_u32 s11, s23, s1
	s_sub_i32 s0, s29, s0
	s_xor_b32 s1, s31, s33
	s_add_i32 s20, s14, 1
	s_sub_i32 s21, s0, s13
	s_cmp_ge_u32 s0, s13
	v_lshrrev_b32_e32 v4, 29, v2
	s_cselect_b32 s14, s20, s14
	s_cselect_b32 s0, s21, s0
	s_add_i32 s20, s14, 1
	s_cmp_ge_u32 s0, s13
	v_dual_mov_b32 v67, 0 :: v_dual_mov_b32 v68, 0
	s_cselect_b32 s0, s20, s14
	s_abs_i32 s21, s28
	s_xor_b32 s0, s0, s1
	v_dual_mov_b32 v69, 0 :: v_dual_mov_b32 v70, 0
	s_sub_i32 s13, s0, s1
	s_ashr_i32 s1, s5, 31
	s_abs_i32 s0, s13
	s_lshr_b32 s22, s1, 29
	v_cvt_f32_u32_e32 v3, s0
	s_sub_i32 s20, 0, s0
	s_add_i32 s22, s5, s22
	v_dual_mov_b32 v71, 0 :: v_dual_mov_b32 v72, 0
	s_delay_alu instid0(VALU_DEP_2)
	v_rcp_iflag_f32_e32 v3, v3
	v_dual_mov_b32 v73, 0 :: v_dual_mov_b32 v50, 0
	v_dual_mov_b32 v51, 0 :: v_dual_mov_b32 v52, 0
	;; [unrolled: 1-line block ×5, first 2 shown]
	s_waitcnt_depctr 0xfff
	v_dual_mul_f32 v3, 0x4f7ffffe, v3 :: v_dual_mov_b32 v66, 0
	v_dual_mov_b32 v65, 0 :: v_dual_mov_b32 v62, 0
	v_dual_mov_b32 v63, 0 :: v_dual_mov_b32 v60, 0
	s_delay_alu instid0(VALU_DEP_3) | instskip(SKIP_2) | instid1(VALU_DEP_3)
	v_cvt_u32_f32_e32 v3, v3
	v_dual_mov_b32 v61, 0 :: v_dual_mov_b32 v58, 0
	v_dual_mov_b32 v59, 0 :: v_dual_mov_b32 v56, 0
	v_readfirstlane_b32 s14, v3
	v_add_nc_u32_e32 v3, v1, v4
	v_dual_mov_b32 v57, 0 :: v_dual_mov_b32 v54, 0
	v_dual_mov_b32 v55, 0 :: v_dual_mov_b32 v74, 0
	s_delay_alu instid0(VALU_DEP_4) | instskip(NEXT) | instid1(VALU_DEP_3)
	s_mul_i32 s20, s20, s14
	v_ashrrev_i32_e32 v3, 3, v3
	s_mul_hi_u32 s20, s14, s20
	v_dual_mov_b32 v75, 0 :: v_dual_mov_b32 v76, 0
	s_add_i32 s20, s14, s20
	s_ashr_i32 s14, s22, 3
	s_mul_hi_u32 s20, s21, s20
	s_xor_b32 s22, s28, s13
	s_mul_i32 s23, s20, s0
	s_ashr_i32 s22, s22, 31
	s_sub_i32 s21, s21, s23
	s_add_i32 s23, s20, 1
	s_sub_i32 s29, s21, s0
	s_cmp_ge_u32 s21, s0
	v_ashrrev_i32_e32 v4, 31, v3
	s_cselect_b32 s20, s23, s20
	s_cselect_b32 s21, s29, s21
	s_add_i32 s23, s20, 1
	s_cmp_ge_u32 s21, s0
	v_lshlrev_b64 v[3:4], 2, v[3:4]
	s_cselect_b32 s0, s23, s20
	v_mov_b32_e32 v77, 0
	s_xor_b32 s0, s0, s22
	s_delay_alu instid0(SALU_CYCLE_1) | instskip(NEXT) | instid1(SALU_CYCLE_1)
	s_sub_i32 s20, s0, s22
	s_mul_i32 s22, s20, s5
	s_mul_i32 s34, s20, s14
	s_ashr_i32 s23, s22, 31
	s_delay_alu instid0(SALU_CYCLE_1) | instskip(NEXT) | instid1(SALU_CYCLE_1)
	s_lshl_b64 s[22:23], s[22:23], 1
	s_add_u32 s0, s6, s22
	s_addc_u32 s21, s7, s23
	s_ashr_i32 s35, s34, 31
	v_add_co_u32 v5, vcc_lo, s0, v20
	s_lshl_b64 s[22:23], s[34:35], 2
	v_add_co_ci_u32_e32 v6, vcc_lo, s21, v21, vcc_lo
	s_add_u32 s0, s10, s22
	s_addc_u32 s21, s11, s23
	v_add_co_u32 v7, vcc_lo, s0, v3
	v_add_co_ci_u32_e32 v8, vcc_lo, s21, v4, vcc_lo
	global_load_b64 v[5:6], v[5:6], off
	v_add_co_u32 v25, vcc_lo, s6, v20
	global_load_b32 v7, v[7:8], off
	v_lshlrev_b32_e32 v8, 4, v0
	v_lshlrev_b64 v[0:1], 2, v[1:2]
	v_add_co_ci_u32_e32 v26, vcc_lo, s7, v21, vcc_lo
	v_add_co_u32 v27, vcc_lo, s10, v3
	s_delay_alu instid0(VALU_DEP_4)
	v_and_b32_e32 v24, 16, v8
	v_add_co_ci_u32_e32 v28, vcc_lo, s11, v4, vcc_lo
	s_mul_hi_i32 s23, s30, s9
	s_mul_i32 s22, s30, s9
	s_ashr_i32 s9, s28, 3
	s_mov_b32 s0, s5
	s_mul_i32 s30, s9, s5
	s_add_i32 s11, s20, 1
	s_ashr_i32 s31, s30, 31
	s_lshl_b32 s10, s5, 2
	s_lshl_b64 s[22:23], s[22:23], 2
	s_lshl_b64 s[30:31], s[30:31], 2
	;; [unrolled: 1-line block ×3, first 2 shown]
	s_mul_i32 s9, s11, s13
	s_ashr_i32 s11, s10, 31
	s_add_u32 s22, s22, s30
	s_addc_u32 s23, s23, s31
	s_add_u32 s18, s18, s22
	s_addc_u32 s19, s19, s23
	v_add_co_u32 v22, vcc_lo, s18, v0
	v_add_co_ci_u32_e32 v23, vcc_lo, s19, v1, vcc_lo
	s_mov_b32 s21, 0
	s_lshl_b64 s[10:11], s[10:11], 2
	s_mov_b32 s18, 0xf000f
	s_mov_b32 s19, 0xf000f0
	s_waitcnt vmcnt(1)
	v_alignbit_b32 v0, s0, v6, 16
	v_alignbit_b32 v1, s0, v5, 16
	v_perm_b32 v35, v6, v6, 0x7060302
	s_waitcnt vmcnt(0)
	v_lshrrev_b32_e32 v2, v8, v7
	v_bfe_u32 v3, v7, v24, 4
	v_pk_mul_f16 v36, 0x2c00, v6 op_sel:[0,1] op_sel_hi:[0,1]
	v_perm_b32 v33, v6, v6, 0x5040100
	v_pk_mul_f16 v34, 0x2c00, v6 op_sel_hi:[0,0]
	v_bfe_u32 v4, v2, 12, 4
	v_bfe_u32 v7, v2, 8, 4
	;; [unrolled: 1-line block ×3, first 2 shown]
	v_add_nc_u32_e32 v3, 1, v3
	v_perm_b32 v30, v5, v5, 0x7060302
	v_add_nc_u32_e32 v4, 1, v4
	v_add_nc_u32_e32 v7, 1, v7
	;; [unrolled: 1-line block ×3, first 2 shown]
	v_or_b32_e32 v8, 0xffffe400, v3
	v_cvt_f32_ubyte0_e32 v3, v3
	v_or_b32_e32 v9, 0xffffe400, v4
	v_or_b32_e32 v10, 0xffffe400, v7
	;; [unrolled: 1-line block ×3, first 2 shown]
	v_cvt_f32_ubyte0_e32 v4, v4
	v_cvt_f32_ubyte0_e32 v7, v7
	;; [unrolled: 1-line block ×3, first 2 shown]
	v_cvt_f16_f32_e32 v3, v3
	v_pk_mul_f16 v8, v5, v8
	v_cvt_f16_f32_e32 v4, v4
	v_cvt_f16_f32_e32 v7, v7
	;; [unrolled: 1-line block ×3, first 2 shown]
	v_sub_f16_e32 v3, 0xd400, v3
	v_pk_mul_f16 v9, v0, v9
	v_sub_f16_e32 v4, 0xd400, v4
	v_sub_f16_e32 v7, 0xd400, v7
	v_sub_f16_e32 v2, 0xd400, v2
	v_pk_mul_f16 v10, v6, v10
	v_pk_mul_f16 v11, v1, v11
	;; [unrolled: 1-line block ×6, first 2 shown]
	v_pk_mul_f16 v32, 0x2c00, v5 op_sel:[0,1] op_sel_hi:[0,1]
	v_perm_b32 v29, v5, v5, 0x5040100
	v_pk_mul_f16 v31, 0x2c00, v5 op_sel_hi:[0,0]
	v_pack_b32_f16 v37, v8, v8
	v_pack_b32_f16 v39, v9, v9
	;; [unrolled: 1-line block ×8, first 2 shown]
	s_branch .LBB3_27
.LBB3_26:                               ;   in Loop: Header=BB3_27 Depth=1
	global_load_b128 v[4:7], v[22:23], off
	v_add_co_u32 v0, vcc_lo, v22, s6
	v_add_co_ci_u32_e32 v1, vcc_lo, s7, v23, vcc_lo
	v_dual_mov_b32 v45, s21 :: v_dual_mov_b32 v82, 0
	s_add_i32 s28, s28, 32
	global_load_b128 v[16:19], v[0:1], off
	v_add_co_u32 v0, vcc_lo, v0, s6
	v_add_co_ci_u32_e32 v1, vcc_lo, s7, v1, vcc_lo
	s_add_i32 s21, s21, 64
	s_cmp_ge_i32 s28, s15
	global_load_b128 v[8:11], v[0:1], off
	v_add_co_u32 v0, vcc_lo, v0, s6
	v_add_co_ci_u32_e32 v1, vcc_lo, s7, v1, vcc_lo
	v_add_co_u32 v22, vcc_lo, v22, s10
	v_add_co_ci_u32_e32 v23, vcc_lo, s11, v23, vcc_lo
	global_load_b128 v[0:3], v[0:1], off
	s_waitcnt vmcnt(3)
	v_and_or_b32 v12, v4, s18, 0x64006400
	v_and_or_b32 v13, v4, s19, 0x64006400
	v_lshrrev_b32_e32 v4, 8, v4
	s_delay_alu instid0(VALU_DEP_3) | instskip(SKIP_1) | instid1(VALU_DEP_3)
	v_pk_fma_f16 v102, v12, v29, v37
	v_and_or_b32 v12, v5, s19, 0x64006400
	v_and_or_b32 v14, v4, s18, 0x64006400
	;; [unrolled: 1-line block ×3, first 2 shown]
	v_pk_fma_f16 v103, v13, v31, v41
	s_delay_alu instid0(VALU_DEP_4) | instskip(NEXT) | instid1(VALU_DEP_4)
	v_pk_fma_f16 v107, v12, v32, v42
	v_pk_fma_f16 v104, v14, v29, v37
	s_delay_alu instid0(VALU_DEP_4) | instskip(SKIP_2) | instid1(VALU_DEP_2)
	v_pk_fma_f16 v105, v4, v31, v41
	v_and_or_b32 v4, v5, s18, 0x64006400
	v_lshrrev_b32_e32 v5, 8, v5
	v_pk_fma_f16 v106, v4, v30, v40
	s_delay_alu instid0(VALU_DEP_2) | instskip(SKIP_2) | instid1(VALU_DEP_3)
	v_and_or_b32 v13, v5, s18, 0x64006400
	v_and_or_b32 v5, v5, s19, 0x64006400
	;; [unrolled: 1-line block ×3, first 2 shown]
	v_pk_fma_f16 v108, v13, v30, v40
	s_delay_alu instid0(VALU_DEP_3) | instskip(SKIP_4) | instid1(VALU_DEP_4)
	v_pk_fma_f16 v109, v5, v32, v42
	v_and_or_b32 v5, v6, s19, 0x64006400
	v_lshrrev_b32_e32 v6, 8, v6
	v_pk_fma_f16 v110, v4, v33, v38
	v_and_or_b32 v4, v7, s18, 0x64006400
	v_pk_fma_f16 v111, v5, v34, v43
	s_delay_alu instid0(VALU_DEP_4) | instskip(SKIP_3) | instid1(VALU_DEP_4)
	v_and_or_b32 v12, v6, s18, 0x64006400
	v_and_or_b32 v6, v6, s19, 0x64006400
	v_and_or_b32 v5, v7, s19, 0x64006400
	v_pk_fma_f16 v118, v4, v35, v39
	v_pk_fma_f16 v112, v12, v33, v38
	s_delay_alu instid0(VALU_DEP_4) | instskip(SKIP_2) | instid1(VALU_DEP_2)
	v_pk_fma_f16 v113, v6, v34, v43
	v_lshrrev_b32_e32 v6, 8, v7
	v_pk_fma_f16 v119, v5, v36, v44
	v_and_or_b32 v7, v6, s18, 0x64006400
	v_and_or_b32 v6, v6, s19, 0x64006400
	s_delay_alu instid0(VALU_DEP_2) | instskip(NEXT) | instid1(VALU_DEP_2)
	v_pk_fma_f16 v120, v7, v35, v39
	v_pk_fma_f16 v121, v6, v36, v44
	ds_load_b128 v[78:81], v45
	ds_load_b128 v[114:117], v45 offset:16
	ds_load_b128 v[12:15], v45 offset:32
	;; [unrolled: 1-line block ×3, first 2 shown]
	s_waitcnt lgkmcnt(3)
	v_dot2acc_f32_f16 v82, v102, v78
	s_delay_alu instid0(VALU_DEP_1) | instskip(NEXT) | instid1(VALU_DEP_1)
	v_dot2acc_f32_f16 v82, v103, v79
	v_dot2acc_f32_f16 v82, v104, v80
	s_delay_alu instid0(VALU_DEP_1) | instskip(NEXT) | instid1(VALU_DEP_1)
	v_dot2acc_f32_f16 v82, v105, v81
	v_dual_add_f32 v122, v49, v82 :: v_dual_mov_b32 v49, 0
	s_delay_alu instid0(VALU_DEP_1) | instskip(NEXT) | instid1(VALU_DEP_1)
	v_dot2acc_f32_f16 v49, v106, v78
	v_dot2acc_f32_f16 v49, v107, v79
	s_delay_alu instid0(VALU_DEP_1) | instskip(NEXT) | instid1(VALU_DEP_1)
	v_dot2acc_f32_f16 v49, v108, v80
	v_dot2acc_f32_f16 v49, v109, v81
	s_delay_alu instid0(VALU_DEP_1) | instskip(NEXT) | instid1(VALU_DEP_1)
	v_dual_add_f32 v123, v49, v48 :: v_dual_mov_b32 v48, 0
	v_dot2acc_f32_f16 v48, v110, v78
	s_delay_alu instid0(VALU_DEP_1) | instskip(NEXT) | instid1(VALU_DEP_1)
	v_dot2acc_f32_f16 v48, v111, v79
	v_dot2acc_f32_f16 v48, v112, v80
	s_delay_alu instid0(VALU_DEP_1) | instskip(NEXT) | instid1(VALU_DEP_1)
	v_dot2acc_f32_f16 v48, v113, v81
	v_dual_add_f32 v124, v48, v47 :: v_dual_mov_b32 v47, 0
	s_delay_alu instid0(VALU_DEP_1) | instskip(NEXT) | instid1(VALU_DEP_1)
	v_dual_dot2acc_f32_f16 v47, v118, v78 :: v_dual_mov_b32 v78, 0
	v_dot2acc_f32_f16 v47, v119, v79
	s_delay_alu instid0(VALU_DEP_1) | instskip(NEXT) | instid1(VALU_DEP_1)
	v_dot2acc_f32_f16 v47, v120, v80
	v_dot2acc_f32_f16 v47, v121, v81
	s_delay_alu instid0(VALU_DEP_1) | instskip(SKIP_3) | instid1(VALU_DEP_1)
	v_add_f32_e32 v125, v47, v46
	ds_load_b128 v[46:49], v45 offset:528
	s_waitcnt lgkmcnt(0)
	v_dot2acc_f32_f16 v78, v102, v46
	v_dot2acc_f32_f16 v78, v103, v47
	s_delay_alu instid0(VALU_DEP_1) | instskip(NEXT) | instid1(VALU_DEP_1)
	v_dot2acc_f32_f16 v78, v104, v48
	v_dot2acc_f32_f16 v78, v105, v49
	s_delay_alu instid0(VALU_DEP_1) | instskip(NEXT) | instid1(VALU_DEP_1)
	v_dual_add_f32 v98, v53, v78 :: v_dual_mov_b32 v53, 0
	v_dot2acc_f32_f16 v53, v106, v46
	s_delay_alu instid0(VALU_DEP_1) | instskip(NEXT) | instid1(VALU_DEP_1)
	v_dot2acc_f32_f16 v53, v107, v47
	v_dot2acc_f32_f16 v53, v108, v48
	s_delay_alu instid0(VALU_DEP_1) | instskip(NEXT) | instid1(VALU_DEP_1)
	v_dot2acc_f32_f16 v53, v109, v49
	v_dual_add_f32 v99, v53, v52 :: v_dual_mov_b32 v52, 0
	s_delay_alu instid0(VALU_DEP_1) | instskip(NEXT) | instid1(VALU_DEP_1)
	v_dot2acc_f32_f16 v52, v110, v46
	v_dot2acc_f32_f16 v52, v111, v47
	s_delay_alu instid0(VALU_DEP_1) | instskip(NEXT) | instid1(VALU_DEP_1)
	v_dot2acc_f32_f16 v52, v112, v48
	v_dot2acc_f32_f16 v52, v113, v49
	s_delay_alu instid0(VALU_DEP_1) | instskip(NEXT) | instid1(VALU_DEP_1)
	v_dual_add_f32 v100, v52, v51 :: v_dual_mov_b32 v51, 0
	v_dot2acc_f32_f16 v51, v118, v46
	s_delay_alu instid0(VALU_DEP_1) | instskip(NEXT) | instid1(VALU_DEP_1)
	v_dot2acc_f32_f16 v51, v119, v47
	v_dot2acc_f32_f16 v51, v120, v48
	s_delay_alu instid0(VALU_DEP_1) | instskip(SKIP_3) | instid1(VALU_DEP_1)
	v_dot2acc_f32_f16 v51, v121, v49
	ds_load_b128 v[46:49], v45 offset:1056
	v_dual_add_f32 v101, v51, v50 :: v_dual_mov_b32 v50, 0
	s_waitcnt lgkmcnt(0)
	v_dot2acc_f32_f16 v50, v102, v46
	s_delay_alu instid0(VALU_DEP_1) | instskip(NEXT) | instid1(VALU_DEP_1)
	v_dot2acc_f32_f16 v50, v103, v47
	v_dot2acc_f32_f16 v50, v104, v48
	s_delay_alu instid0(VALU_DEP_1) | instskip(NEXT) | instid1(VALU_DEP_1)
	v_dot2acc_f32_f16 v50, v105, v49
	v_add_f32_e32 v94, v73, v50
	v_dual_mov_b32 v50, 0 :: v_dual_mov_b32 v73, 0
	s_delay_alu instid0(VALU_DEP_1) | instskip(NEXT) | instid1(VALU_DEP_1)
	v_dot2acc_f32_f16 v50, v106, v46
	v_dot2acc_f32_f16 v50, v107, v47
	s_delay_alu instid0(VALU_DEP_1) | instskip(NEXT) | instid1(VALU_DEP_1)
	v_dot2acc_f32_f16 v50, v108, v48
	v_dot2acc_f32_f16 v50, v109, v49
	s_delay_alu instid0(VALU_DEP_1) | instskip(SKIP_1) | instid1(VALU_DEP_2)
	v_dual_add_f32 v95, v50, v72 :: v_dual_mov_b32 v50, 0
	v_mov_b32_e32 v72, 0
	v_dot2acc_f32_f16 v50, v110, v46
	s_delay_alu instid0(VALU_DEP_1) | instskip(NEXT) | instid1(VALU_DEP_1)
	v_dot2acc_f32_f16 v50, v111, v47
	v_dot2acc_f32_f16 v50, v112, v48
	s_delay_alu instid0(VALU_DEP_1) | instskip(NEXT) | instid1(VALU_DEP_1)
	v_dot2acc_f32_f16 v50, v113, v49
	v_add_f32_e32 v96, v50, v71
	v_dual_mov_b32 v50, 0 :: v_dual_mov_b32 v71, 0
	s_delay_alu instid0(VALU_DEP_1) | instskip(NEXT) | instid1(VALU_DEP_1)
	v_dot2acc_f32_f16 v50, v118, v46
	v_dot2acc_f32_f16 v50, v119, v47
	s_delay_alu instid0(VALU_DEP_1) | instskip(NEXT) | instid1(VALU_DEP_1)
	v_dot2acc_f32_f16 v50, v120, v48
	v_dot2acc_f32_f16 v50, v121, v49
	ds_load_b128 v[46:49], v45 offset:1584
	v_dual_add_f32 v97, v50, v70 :: v_dual_mov_b32 v50, 0
	v_mov_b32_e32 v70, 0
	s_waitcnt lgkmcnt(0)
	s_delay_alu instid0(VALU_DEP_2) | instskip(NEXT) | instid1(VALU_DEP_1)
	v_dot2acc_f32_f16 v50, v102, v46
	v_dot2acc_f32_f16 v50, v103, v47
	s_delay_alu instid0(VALU_DEP_1) | instskip(NEXT) | instid1(VALU_DEP_1)
	v_dot2acc_f32_f16 v50, v104, v48
	v_dot2acc_f32_f16 v50, v105, v49
	s_delay_alu instid0(VALU_DEP_1) | instskip(SKIP_1) | instid1(VALU_DEP_1)
	v_add_f32_e32 v86, v69, v50
	v_mov_b32_e32 v50, 0
	v_dot2acc_f32_f16 v50, v106, v46
	s_delay_alu instid0(VALU_DEP_1) | instskip(NEXT) | instid1(VALU_DEP_1)
	v_dot2acc_f32_f16 v50, v107, v47
	v_dot2acc_f32_f16 v50, v108, v48
	s_delay_alu instid0(VALU_DEP_1) | instskip(NEXT) | instid1(VALU_DEP_1)
	v_dot2acc_f32_f16 v50, v109, v49
	v_dual_add_f32 v87, v50, v68 :: v_dual_mov_b32 v50, 0
	s_delay_alu instid0(VALU_DEP_1) | instskip(NEXT) | instid1(VALU_DEP_1)
	v_dot2acc_f32_f16 v50, v110, v46
	v_dot2acc_f32_f16 v50, v111, v47
	s_delay_alu instid0(VALU_DEP_1) | instskip(NEXT) | instid1(VALU_DEP_1)
	v_dot2acc_f32_f16 v50, v112, v48
	v_dot2acc_f32_f16 v50, v113, v49
	s_delay_alu instid0(VALU_DEP_1) | instskip(SKIP_1) | instid1(VALU_DEP_1)
	v_add_f32_e32 v88, v50, v67
	v_mov_b32_e32 v50, 0
	v_dot2acc_f32_f16 v50, v118, v46
	s_delay_alu instid0(VALU_DEP_1) | instskip(NEXT) | instid1(VALU_DEP_1)
	v_dot2acc_f32_f16 v50, v119, v47
	v_dot2acc_f32_f16 v50, v120, v48
	s_delay_alu instid0(VALU_DEP_1) | instskip(SKIP_3) | instid1(VALU_DEP_1)
	v_dot2acc_f32_f16 v50, v121, v49
	ds_load_b128 v[46:49], v45 offset:2112
	v_dual_add_f32 v89, v50, v66 :: v_dual_mov_b32 v50, 0
	s_waitcnt lgkmcnt(0)
	v_dot2acc_f32_f16 v50, v102, v46
	s_delay_alu instid0(VALU_DEP_1) | instskip(NEXT) | instid1(VALU_DEP_1)
	v_dot2acc_f32_f16 v50, v103, v47
	v_dot2acc_f32_f16 v50, v104, v48
	s_delay_alu instid0(VALU_DEP_1) | instskip(NEXT) | instid1(VALU_DEP_1)
	v_dot2acc_f32_f16 v50, v105, v49
	v_add_f32_e32 v90, v65, v50
	v_mov_b32_e32 v50, 0
	s_delay_alu instid0(VALU_DEP_1) | instskip(NEXT) | instid1(VALU_DEP_1)
	v_dot2acc_f32_f16 v50, v106, v46
	v_dot2acc_f32_f16 v50, v107, v47
	s_delay_alu instid0(VALU_DEP_1) | instskip(NEXT) | instid1(VALU_DEP_1)
	v_dot2acc_f32_f16 v50, v108, v48
	v_dot2acc_f32_f16 v50, v109, v49
	s_delay_alu instid0(VALU_DEP_1) | instskip(NEXT) | instid1(VALU_DEP_1)
	v_dual_add_f32 v91, v50, v64 :: v_dual_mov_b32 v50, 0
	v_dot2acc_f32_f16 v50, v110, v46
	s_delay_alu instid0(VALU_DEP_1) | instskip(NEXT) | instid1(VALU_DEP_1)
	v_dot2acc_f32_f16 v50, v111, v47
	v_dot2acc_f32_f16 v50, v112, v48
	s_delay_alu instid0(VALU_DEP_1) | instskip(NEXT) | instid1(VALU_DEP_1)
	v_dot2acc_f32_f16 v50, v113, v49
	v_add_f32_e32 v92, v50, v63
	v_mov_b32_e32 v50, 0
	s_delay_alu instid0(VALU_DEP_1) | instskip(NEXT) | instid1(VALU_DEP_1)
	v_dot2acc_f32_f16 v50, v118, v46
	v_dot2acc_f32_f16 v50, v119, v47
	s_delay_alu instid0(VALU_DEP_1) | instskip(NEXT) | instid1(VALU_DEP_1)
	v_dot2acc_f32_f16 v50, v120, v48
	v_dot2acc_f32_f16 v50, v121, v49
	ds_load_b128 v[46:49], v45 offset:2640
	v_dual_add_f32 v93, v50, v62 :: v_dual_mov_b32 v50, 0
	s_waitcnt lgkmcnt(0)
	s_delay_alu instid0(VALU_DEP_1) | instskip(NEXT) | instid1(VALU_DEP_1)
	v_dot2acc_f32_f16 v50, v102, v46
	v_dot2acc_f32_f16 v50, v103, v47
	s_delay_alu instid0(VALU_DEP_1) | instskip(NEXT) | instid1(VALU_DEP_1)
	v_dot2acc_f32_f16 v50, v104, v48
	v_dot2acc_f32_f16 v50, v105, v49
	s_delay_alu instid0(VALU_DEP_1) | instskip(SKIP_1) | instid1(VALU_DEP_1)
	v_add_f32_e32 v82, v61, v50
	v_mov_b32_e32 v50, 0
	v_dot2acc_f32_f16 v50, v106, v46
	s_delay_alu instid0(VALU_DEP_1) | instskip(NEXT) | instid1(VALU_DEP_1)
	v_dot2acc_f32_f16 v50, v107, v47
	v_dot2acc_f32_f16 v50, v108, v48
	s_delay_alu instid0(VALU_DEP_1) | instskip(NEXT) | instid1(VALU_DEP_1)
	v_dot2acc_f32_f16 v50, v109, v49
	v_dual_add_f32 v83, v50, v60 :: v_dual_mov_b32 v50, 0
	s_delay_alu instid0(VALU_DEP_1) | instskip(NEXT) | instid1(VALU_DEP_1)
	v_dot2acc_f32_f16 v50, v110, v46
	v_dot2acc_f32_f16 v50, v111, v47
	s_delay_alu instid0(VALU_DEP_1) | instskip(NEXT) | instid1(VALU_DEP_1)
	v_dot2acc_f32_f16 v50, v112, v48
	v_dot2acc_f32_f16 v50, v113, v49
	s_delay_alu instid0(VALU_DEP_1) | instskip(SKIP_1) | instid1(VALU_DEP_1)
	v_add_f32_e32 v84, v50, v59
	v_mov_b32_e32 v50, 0
	v_dot2acc_f32_f16 v50, v118, v46
	s_delay_alu instid0(VALU_DEP_1) | instskip(NEXT) | instid1(VALU_DEP_1)
	v_dot2acc_f32_f16 v50, v119, v47
	v_dot2acc_f32_f16 v50, v120, v48
	s_delay_alu instid0(VALU_DEP_1) | instskip(SKIP_3) | instid1(VALU_DEP_1)
	v_dot2acc_f32_f16 v50, v121, v49
	ds_load_b128 v[46:49], v45 offset:3168
	v_dual_add_f32 v85, v50, v58 :: v_dual_mov_b32 v50, 0
	s_waitcnt lgkmcnt(0)
	v_dot2acc_f32_f16 v50, v102, v46
	s_delay_alu instid0(VALU_DEP_1) | instskip(NEXT) | instid1(VALU_DEP_1)
	v_dot2acc_f32_f16 v50, v103, v47
	v_dot2acc_f32_f16 v50, v104, v48
	s_delay_alu instid0(VALU_DEP_1) | instskip(NEXT) | instid1(VALU_DEP_1)
	v_dot2acc_f32_f16 v50, v105, v49
	v_add_f32_e32 v78, v57, v50
	v_mov_b32_e32 v50, 0
	s_delay_alu instid0(VALU_DEP_1) | instskip(NEXT) | instid1(VALU_DEP_1)
	v_dot2acc_f32_f16 v50, v106, v46
	v_dot2acc_f32_f16 v50, v107, v47
	s_delay_alu instid0(VALU_DEP_1) | instskip(NEXT) | instid1(VALU_DEP_1)
	v_dot2acc_f32_f16 v50, v108, v48
	v_dot2acc_f32_f16 v50, v109, v49
	s_delay_alu instid0(VALU_DEP_1) | instskip(NEXT) | instid1(VALU_DEP_1)
	v_dual_add_f32 v79, v50, v56 :: v_dual_mov_b32 v50, 0
	v_dot2acc_f32_f16 v50, v110, v46
	s_delay_alu instid0(VALU_DEP_1) | instskip(NEXT) | instid1(VALU_DEP_1)
	v_dot2acc_f32_f16 v50, v111, v47
	v_dot2acc_f32_f16 v50, v112, v48
	s_delay_alu instid0(VALU_DEP_1) | instskip(NEXT) | instid1(VALU_DEP_1)
	v_dot2acc_f32_f16 v50, v113, v49
	v_add_f32_e32 v80, v50, v55
	v_mov_b32_e32 v50, 0
	s_delay_alu instid0(VALU_DEP_1) | instskip(NEXT) | instid1(VALU_DEP_1)
	v_dot2acc_f32_f16 v50, v118, v46
	v_dot2acc_f32_f16 v50, v119, v47
	s_delay_alu instid0(VALU_DEP_1) | instskip(NEXT) | instid1(VALU_DEP_1)
	v_dot2acc_f32_f16 v50, v120, v48
	v_dot2acc_f32_f16 v50, v121, v49
	ds_load_b128 v[46:49], v45 offset:3696
	v_dual_add_f32 v81, v50, v54 :: v_dual_mov_b32 v50, 0
	s_waitcnt lgkmcnt(0)
	s_delay_alu instid0(VALU_DEP_1) | instskip(NEXT) | instid1(VALU_DEP_1)
	v_dot2acc_f32_f16 v50, v102, v46
	v_dot2acc_f32_f16 v50, v103, v47
	s_delay_alu instid0(VALU_DEP_1) | instskip(NEXT) | instid1(VALU_DEP_1)
	v_dot2acc_f32_f16 v50, v104, v48
	v_dot2acc_f32_f16 v50, v105, v49
	s_delay_alu instid0(VALU_DEP_1) | instskip(SKIP_1) | instid1(VALU_DEP_2)
	v_dual_add_f32 v57, v74, v50 :: v_dual_mov_b32 v50, 0
	v_mov_b32_e32 v74, 0
	v_dot2acc_f32_f16 v50, v106, v46
	s_delay_alu instid0(VALU_DEP_1) | instskip(NEXT) | instid1(VALU_DEP_1)
	v_dot2acc_f32_f16 v50, v107, v47
	v_dot2acc_f32_f16 v50, v108, v48
	s_delay_alu instid0(VALU_DEP_1) | instskip(NEXT) | instid1(VALU_DEP_1)
	v_dot2acc_f32_f16 v50, v109, v49
	v_dual_add_f32 v55, v50, v75 :: v_dual_mov_b32 v50, 0
	s_delay_alu instid0(VALU_DEP_1) | instskip(NEXT) | instid1(VALU_DEP_1)
	v_dual_mov_b32 v75, 0 :: v_dual_dot2acc_f32_f16 v50, v110, v46
	v_dot2acc_f32_f16 v50, v111, v47
	s_delay_alu instid0(VALU_DEP_1) | instskip(NEXT) | instid1(VALU_DEP_1)
	v_dot2acc_f32_f16 v50, v112, v48
	v_dot2acc_f32_f16 v50, v113, v49
	s_delay_alu instid0(VALU_DEP_1) | instskip(SKIP_2) | instid1(VALU_DEP_2)
	v_add_f32_e32 v52, v50, v76
	v_mov_b32_e32 v50, 0
	v_mov_b32_e32 v76, 0
	v_dot2acc_f32_f16 v50, v118, v46
	s_waitcnt vmcnt(2)
	v_and_or_b32 v46, v16, s18, 0x64006400
	s_delay_alu instid0(VALU_DEP_2) | instskip(SKIP_2) | instid1(VALU_DEP_4)
	v_dot2acc_f32_f16 v50, v119, v47
	v_and_or_b32 v47, v16, s19, 0x64006400
	v_lshrrev_b32_e32 v16, 8, v16
	v_pk_fma_f16 v66, v46, v29, v37
	v_and_or_b32 v46, v17, s19, 0x64006400
	v_dot2acc_f32_f16 v50, v120, v48
	v_pk_fma_f16 v67, v47, v31, v41
	v_and_or_b32 v48, v16, s18, 0x64006400
	v_and_or_b32 v16, v16, s19, 0x64006400
	v_pk_fma_f16 v63, v46, v32, v42
	v_dot2acc_f32_f16 v50, v121, v49
	s_delay_alu instid0(VALU_DEP_4) | instskip(NEXT) | instid1(VALU_DEP_4)
	v_pk_fma_f16 v68, v48, v29, v37
	v_pk_fma_f16 v69, v16, v31, v41
	v_and_or_b32 v16, v17, s18, 0x64006400
	v_lshrrev_b32_e32 v17, 8, v17
	v_dual_add_f32 v50, v50, v77 :: v_dual_mov_b32 v77, 0
	s_delay_alu instid0(VALU_DEP_3) | instskip(SKIP_1) | instid1(VALU_DEP_4)
	v_pk_fma_f16 v62, v16, v30, v40
	v_and_or_b32 v16, v18, s18, 0x64006400
	v_and_or_b32 v47, v17, s18, 0x64006400
	;; [unrolled: 1-line block ×3, first 2 shown]
	s_delay_alu instid0(VALU_DEP_3) | instskip(SKIP_1) | instid1(VALU_DEP_4)
	v_pk_fma_f16 v58, v16, v33, v38
	v_and_or_b32 v16, v19, s18, 0x64006400
	v_pk_fma_f16 v64, v47, v30, v40
	s_delay_alu instid0(VALU_DEP_4) | instskip(SKIP_4) | instid1(VALU_DEP_4)
	v_pk_fma_f16 v65, v17, v32, v42
	v_and_or_b32 v17, v18, s19, 0x64006400
	v_lshrrev_b32_e32 v18, 8, v18
	v_pk_fma_f16 v56, v16, v35, v39
	v_mov_b32_e32 v16, 0
	v_pk_fma_f16 v59, v17, v34, v43
	s_delay_alu instid0(VALU_DEP_4) | instskip(SKIP_1) | instid1(VALU_DEP_4)
	v_and_or_b32 v46, v18, s18, 0x64006400
	v_and_or_b32 v18, v18, s19, 0x64006400
	v_dot2acc_f32_f16 v16, v66, v114
	v_and_or_b32 v17, v19, s19, 0x64006400
	s_delay_alu instid0(VALU_DEP_4) | instskip(NEXT) | instid1(VALU_DEP_4)
	v_pk_fma_f16 v60, v46, v33, v38
	v_pk_fma_f16 v61, v18, v34, v43
	s_delay_alu instid0(VALU_DEP_4) | instskip(SKIP_2) | instid1(VALU_DEP_3)
	v_dot2acc_f32_f16 v16, v67, v115
	v_lshrrev_b32_e32 v18, 8, v19
	v_pk_fma_f16 v54, v17, v36, v44
	v_dot2acc_f32_f16 v16, v68, v116
	s_delay_alu instid0(VALU_DEP_3) | instskip(SKIP_1) | instid1(VALU_DEP_3)
	v_and_or_b32 v19, v18, s18, 0x64006400
	v_and_or_b32 v18, v18, s19, 0x64006400
	v_dot2acc_f32_f16 v16, v69, v117
	s_delay_alu instid0(VALU_DEP_3) | instskip(NEXT) | instid1(VALU_DEP_3)
	v_pk_fma_f16 v53, v19, v35, v39
	v_pk_fma_f16 v51, v18, v36, v44
	s_delay_alu instid0(VALU_DEP_3) | instskip(NEXT) | instid1(VALU_DEP_1)
	v_dual_add_f32 v49, v122, v16 :: v_dual_mov_b32 v16, 0
	v_dot2acc_f32_f16 v16, v62, v114
	s_delay_alu instid0(VALU_DEP_1) | instskip(NEXT) | instid1(VALU_DEP_1)
	v_dot2acc_f32_f16 v16, v63, v115
	v_dot2acc_f32_f16 v16, v64, v116
	s_delay_alu instid0(VALU_DEP_1) | instskip(NEXT) | instid1(VALU_DEP_1)
	v_dot2acc_f32_f16 v16, v65, v117
	v_add_f32_e32 v48, v16, v123
	v_mov_b32_e32 v16, 0
	s_delay_alu instid0(VALU_DEP_1) | instskip(NEXT) | instid1(VALU_DEP_1)
	v_dot2acc_f32_f16 v16, v58, v114
	v_dot2acc_f32_f16 v16, v59, v115
	s_delay_alu instid0(VALU_DEP_1) | instskip(NEXT) | instid1(VALU_DEP_1)
	v_dot2acc_f32_f16 v16, v60, v116
	v_dot2acc_f32_f16 v16, v61, v117
	s_delay_alu instid0(VALU_DEP_1) | instskip(NEXT) | instid1(VALU_DEP_1)
	v_dual_add_f32 v47, v16, v124 :: v_dual_mov_b32 v16, 0
	v_dot2acc_f32_f16 v16, v56, v114
	s_delay_alu instid0(VALU_DEP_1) | instskip(NEXT) | instid1(VALU_DEP_1)
	v_dot2acc_f32_f16 v16, v54, v115
	v_dot2acc_f32_f16 v16, v53, v116
	s_delay_alu instid0(VALU_DEP_1) | instskip(NEXT) | instid1(VALU_DEP_1)
	v_dot2acc_f32_f16 v16, v51, v117
	v_add_f32_e32 v46, v16, v125
	ds_load_b128 v[16:19], v45 offset:544
	s_waitcnt lgkmcnt(0)
	v_dot2acc_f32_f16 v70, v66, v16
	v_dot2acc_f32_f16 v71, v62, v16
	;; [unrolled: 1-line block ×3, first 2 shown]
	s_delay_alu instid0(VALU_DEP_3) | instskip(NEXT) | instid1(VALU_DEP_3)
	v_dual_dot2acc_f32_f16 v73, v56, v16 :: v_dual_dot2acc_f32_f16 v70, v67, v17
	v_dot2acc_f32_f16 v71, v63, v17
	s_delay_alu instid0(VALU_DEP_3) | instskip(NEXT) | instid1(VALU_DEP_3)
	v_dot2acc_f32_f16 v72, v59, v17
	v_dual_dot2acc_f32_f16 v73, v54, v17 :: v_dual_dot2acc_f32_f16 v70, v68, v18
	s_delay_alu instid0(VALU_DEP_3) | instskip(NEXT) | instid1(VALU_DEP_3)
	v_dot2acc_f32_f16 v71, v64, v18
	v_dot2acc_f32_f16 v72, v60, v18
	s_delay_alu instid0(VALU_DEP_3) | instskip(NEXT) | instid1(VALU_DEP_4)
	v_dot2acc_f32_f16 v73, v53, v18
	v_dot2acc_f32_f16 v70, v69, v19
	s_delay_alu instid0(VALU_DEP_4) | instskip(NEXT) | instid1(VALU_DEP_4)
	v_dot2acc_f32_f16 v71, v65, v19
	v_dot2acc_f32_f16 v72, v61, v19
	s_delay_alu instid0(VALU_DEP_4)
	v_dot2acc_f32_f16 v73, v51, v19
	ds_load_b128 v[16:19], v45 offset:1072
	v_dual_add_f32 v70, v98, v70 :: v_dual_add_f32 v71, v71, v99
	v_dual_add_f32 v72, v72, v100 :: v_dual_add_f32 v73, v73, v101
	s_waitcnt lgkmcnt(0)
	v_dot2acc_f32_f16 v74, v66, v16
	v_dot2acc_f32_f16 v75, v62, v16
	;; [unrolled: 1-line block ×3, first 2 shown]
	s_delay_alu instid0(VALU_DEP_3) | instskip(NEXT) | instid1(VALU_DEP_3)
	v_dual_dot2acc_f32_f16 v77, v56, v16 :: v_dual_dot2acc_f32_f16 v74, v67, v17
	v_dot2acc_f32_f16 v75, v63, v17
	s_delay_alu instid0(VALU_DEP_3) | instskip(NEXT) | instid1(VALU_DEP_3)
	v_dot2acc_f32_f16 v76, v59, v17
	v_dual_dot2acc_f32_f16 v77, v54, v17 :: v_dual_dot2acc_f32_f16 v74, v68, v18
	s_delay_alu instid0(VALU_DEP_3) | instskip(NEXT) | instid1(VALU_DEP_3)
	v_dot2acc_f32_f16 v75, v64, v18
	v_dot2acc_f32_f16 v76, v60, v18
	s_delay_alu instid0(VALU_DEP_3) | instskip(NEXT) | instid1(VALU_DEP_4)
	v_dot2acc_f32_f16 v77, v53, v18
	v_dot2acc_f32_f16 v74, v69, v19
	s_delay_alu instid0(VALU_DEP_4) | instskip(NEXT) | instid1(VALU_DEP_4)
	v_dot2acc_f32_f16 v75, v65, v19
	v_dot2acc_f32_f16 v76, v61, v19
	s_delay_alu instid0(VALU_DEP_4)
	v_dot2acc_f32_f16 v77, v51, v19
	ds_load_b128 v[16:19], v45 offset:1600
	v_add_f32_e32 v74, v94, v74
	v_dual_mov_b32 v94, 0 :: v_dual_add_f32 v75, v75, v95
	v_dual_add_f32 v76, v76, v96 :: v_dual_add_f32 v77, v77, v97
	s_waitcnt lgkmcnt(0)
	s_delay_alu instid0(VALU_DEP_2) | instskip(NEXT) | instid1(VALU_DEP_1)
	v_dot2acc_f32_f16 v94, v66, v16
	v_dot2acc_f32_f16 v94, v67, v17
	s_delay_alu instid0(VALU_DEP_1) | instskip(NEXT) | instid1(VALU_DEP_1)
	v_dot2acc_f32_f16 v94, v68, v18
	v_dot2acc_f32_f16 v94, v69, v19
	s_delay_alu instid0(VALU_DEP_1) | instskip(SKIP_1) | instid1(VALU_DEP_1)
	v_add_f32_e32 v86, v86, v94
	v_mov_b32_e32 v94, 0
	v_dot2acc_f32_f16 v94, v62, v16
	s_delay_alu instid0(VALU_DEP_1) | instskip(NEXT) | instid1(VALU_DEP_1)
	v_dot2acc_f32_f16 v94, v63, v17
	v_dot2acc_f32_f16 v94, v64, v18
	s_delay_alu instid0(VALU_DEP_1) | instskip(NEXT) | instid1(VALU_DEP_1)
	v_dot2acc_f32_f16 v94, v65, v19
	v_dual_add_f32 v87, v94, v87 :: v_dual_mov_b32 v94, 0
	s_delay_alu instid0(VALU_DEP_1) | instskip(NEXT) | instid1(VALU_DEP_1)
	v_dot2acc_f32_f16 v94, v58, v16
	v_dot2acc_f32_f16 v94, v59, v17
	s_delay_alu instid0(VALU_DEP_1) | instskip(NEXT) | instid1(VALU_DEP_1)
	v_dot2acc_f32_f16 v94, v60, v18
	v_dot2acc_f32_f16 v94, v61, v19
	s_delay_alu instid0(VALU_DEP_1) | instskip(SKIP_1) | instid1(VALU_DEP_1)
	v_add_f32_e32 v88, v94, v88
	v_mov_b32_e32 v94, 0
	v_dot2acc_f32_f16 v94, v56, v16
	s_delay_alu instid0(VALU_DEP_1) | instskip(NEXT) | instid1(VALU_DEP_1)
	v_dot2acc_f32_f16 v94, v54, v17
	v_dot2acc_f32_f16 v94, v53, v18
	s_delay_alu instid0(VALU_DEP_1) | instskip(SKIP_3) | instid1(VALU_DEP_1)
	v_dot2acc_f32_f16 v94, v51, v19
	ds_load_b128 v[16:19], v45 offset:2128
	v_dual_add_f32 v89, v94, v89 :: v_dual_mov_b32 v94, 0
	s_waitcnt lgkmcnt(0)
	v_dot2acc_f32_f16 v94, v66, v16
	s_delay_alu instid0(VALU_DEP_1) | instskip(NEXT) | instid1(VALU_DEP_1)
	v_dot2acc_f32_f16 v94, v67, v17
	v_dot2acc_f32_f16 v94, v68, v18
	s_delay_alu instid0(VALU_DEP_1) | instskip(NEXT) | instid1(VALU_DEP_1)
	v_dot2acc_f32_f16 v94, v69, v19
	v_add_f32_e32 v90, v90, v94
	v_mov_b32_e32 v94, 0
	s_delay_alu instid0(VALU_DEP_1) | instskip(NEXT) | instid1(VALU_DEP_1)
	v_dot2acc_f32_f16 v94, v62, v16
	v_dot2acc_f32_f16 v94, v63, v17
	s_delay_alu instid0(VALU_DEP_1) | instskip(NEXT) | instid1(VALU_DEP_1)
	v_dot2acc_f32_f16 v94, v64, v18
	v_dot2acc_f32_f16 v94, v65, v19
	s_delay_alu instid0(VALU_DEP_1) | instskip(NEXT) | instid1(VALU_DEP_1)
	v_dual_add_f32 v91, v94, v91 :: v_dual_mov_b32 v94, 0
	v_dot2acc_f32_f16 v94, v58, v16
	s_delay_alu instid0(VALU_DEP_1) | instskip(NEXT) | instid1(VALU_DEP_1)
	v_dot2acc_f32_f16 v94, v59, v17
	v_dot2acc_f32_f16 v94, v60, v18
	s_delay_alu instid0(VALU_DEP_1) | instskip(NEXT) | instid1(VALU_DEP_1)
	v_dot2acc_f32_f16 v94, v61, v19
	v_add_f32_e32 v92, v94, v92
	v_mov_b32_e32 v94, 0
	s_delay_alu instid0(VALU_DEP_1) | instskip(NEXT) | instid1(VALU_DEP_1)
	v_dot2acc_f32_f16 v94, v56, v16
	v_dot2acc_f32_f16 v94, v54, v17
	s_delay_alu instid0(VALU_DEP_1) | instskip(NEXT) | instid1(VALU_DEP_1)
	v_dot2acc_f32_f16 v94, v53, v18
	v_dot2acc_f32_f16 v94, v51, v19
	ds_load_b128 v[16:19], v45 offset:2656
	v_dual_add_f32 v93, v94, v93 :: v_dual_mov_b32 v94, 0
	s_waitcnt lgkmcnt(0)
	s_delay_alu instid0(VALU_DEP_1) | instskip(NEXT) | instid1(VALU_DEP_1)
	v_dot2acc_f32_f16 v94, v66, v16
	v_dot2acc_f32_f16 v94, v67, v17
	s_delay_alu instid0(VALU_DEP_1) | instskip(NEXT) | instid1(VALU_DEP_1)
	v_dot2acc_f32_f16 v94, v68, v18
	v_dot2acc_f32_f16 v94, v69, v19
	s_delay_alu instid0(VALU_DEP_1) | instskip(SKIP_1) | instid1(VALU_DEP_1)
	v_add_f32_e32 v82, v82, v94
	v_mov_b32_e32 v94, 0
	v_dot2acc_f32_f16 v94, v62, v16
	s_delay_alu instid0(VALU_DEP_1) | instskip(NEXT) | instid1(VALU_DEP_1)
	v_dot2acc_f32_f16 v94, v63, v17
	v_dot2acc_f32_f16 v94, v64, v18
	s_delay_alu instid0(VALU_DEP_1) | instskip(NEXT) | instid1(VALU_DEP_1)
	v_dot2acc_f32_f16 v94, v65, v19
	v_dual_add_f32 v83, v94, v83 :: v_dual_mov_b32 v94, 0
	s_delay_alu instid0(VALU_DEP_1) | instskip(NEXT) | instid1(VALU_DEP_1)
	v_dot2acc_f32_f16 v94, v58, v16
	v_dot2acc_f32_f16 v94, v59, v17
	s_delay_alu instid0(VALU_DEP_1) | instskip(NEXT) | instid1(VALU_DEP_1)
	v_dot2acc_f32_f16 v94, v60, v18
	v_dot2acc_f32_f16 v94, v61, v19
	s_delay_alu instid0(VALU_DEP_1) | instskip(SKIP_1) | instid1(VALU_DEP_1)
	v_add_f32_e32 v84, v94, v84
	v_mov_b32_e32 v94, 0
	v_dot2acc_f32_f16 v94, v56, v16
	s_delay_alu instid0(VALU_DEP_1) | instskip(NEXT) | instid1(VALU_DEP_1)
	v_dot2acc_f32_f16 v94, v54, v17
	v_dot2acc_f32_f16 v94, v53, v18
	s_delay_alu instid0(VALU_DEP_1) | instskip(SKIP_3) | instid1(VALU_DEP_1)
	v_dot2acc_f32_f16 v94, v51, v19
	ds_load_b128 v[16:19], v45 offset:3184
	v_dual_add_f32 v85, v94, v85 :: v_dual_mov_b32 v94, 0
	s_waitcnt lgkmcnt(0)
	v_dot2acc_f32_f16 v94, v66, v16
	s_delay_alu instid0(VALU_DEP_1) | instskip(NEXT) | instid1(VALU_DEP_1)
	v_dot2acc_f32_f16 v94, v67, v17
	v_dot2acc_f32_f16 v94, v68, v18
	s_delay_alu instid0(VALU_DEP_1) | instskip(NEXT) | instid1(VALU_DEP_1)
	v_dot2acc_f32_f16 v94, v69, v19
	v_add_f32_e32 v78, v78, v94
	v_mov_b32_e32 v94, 0
	s_delay_alu instid0(VALU_DEP_1) | instskip(NEXT) | instid1(VALU_DEP_1)
	v_dot2acc_f32_f16 v94, v62, v16
	v_dot2acc_f32_f16 v94, v63, v17
	s_delay_alu instid0(VALU_DEP_1) | instskip(NEXT) | instid1(VALU_DEP_1)
	v_dot2acc_f32_f16 v94, v64, v18
	v_dot2acc_f32_f16 v94, v65, v19
	s_delay_alu instid0(VALU_DEP_1) | instskip(NEXT) | instid1(VALU_DEP_1)
	v_dual_add_f32 v79, v94, v79 :: v_dual_mov_b32 v94, 0
	v_dot2acc_f32_f16 v94, v58, v16
	s_delay_alu instid0(VALU_DEP_1) | instskip(NEXT) | instid1(VALU_DEP_1)
	v_dot2acc_f32_f16 v94, v59, v17
	v_dot2acc_f32_f16 v94, v60, v18
	s_delay_alu instid0(VALU_DEP_1) | instskip(NEXT) | instid1(VALU_DEP_1)
	v_dot2acc_f32_f16 v94, v61, v19
	v_add_f32_e32 v80, v94, v80
	v_mov_b32_e32 v94, 0
	s_delay_alu instid0(VALU_DEP_1) | instskip(NEXT) | instid1(VALU_DEP_1)
	v_dot2acc_f32_f16 v94, v56, v16
	v_dot2acc_f32_f16 v94, v54, v17
	s_delay_alu instid0(VALU_DEP_1) | instskip(NEXT) | instid1(VALU_DEP_1)
	v_dot2acc_f32_f16 v94, v53, v18
	v_dot2acc_f32_f16 v94, v51, v19
	ds_load_b128 v[16:19], v45 offset:3712
	v_dual_add_f32 v81, v94, v81 :: v_dual_mov_b32 v94, 0
	s_waitcnt lgkmcnt(0)
	s_delay_alu instid0(VALU_DEP_1) | instskip(NEXT) | instid1(VALU_DEP_1)
	v_dot2acc_f32_f16 v94, v66, v16
	v_dot2acc_f32_f16 v94, v67, v17
	s_delay_alu instid0(VALU_DEP_1) | instskip(NEXT) | instid1(VALU_DEP_1)
	v_dot2acc_f32_f16 v94, v68, v18
	v_dot2acc_f32_f16 v94, v69, v19
	s_delay_alu instid0(VALU_DEP_1) | instskip(NEXT) | instid1(VALU_DEP_1)
	v_dual_add_f32 v94, v57, v94 :: v_dual_mov_b32 v57, 0
	v_dot2acc_f32_f16 v57, v62, v16
	s_delay_alu instid0(VALU_DEP_1) | instskip(NEXT) | instid1(VALU_DEP_1)
	v_dot2acc_f32_f16 v57, v63, v17
	v_dot2acc_f32_f16 v57, v64, v18
	s_delay_alu instid0(VALU_DEP_1) | instskip(NEXT) | instid1(VALU_DEP_1)
	v_dot2acc_f32_f16 v57, v65, v19
	v_add_f32_e32 v95, v57, v55
	v_mov_b32_e32 v55, 0
	s_delay_alu instid0(VALU_DEP_1) | instskip(NEXT) | instid1(VALU_DEP_1)
	v_dot2acc_f32_f16 v55, v58, v16
	v_dot2acc_f32_f16 v55, v59, v17
	s_delay_alu instid0(VALU_DEP_1) | instskip(NEXT) | instid1(VALU_DEP_1)
	v_dot2acc_f32_f16 v55, v60, v18
	v_dot2acc_f32_f16 v55, v61, v19
	s_delay_alu instid0(VALU_DEP_1) | instskip(NEXT) | instid1(VALU_DEP_1)
	v_dual_add_f32 v52, v55, v52 :: v_dual_mov_b32 v55, 0
	v_dot2acc_f32_f16 v55, v56, v16
	s_delay_alu instid0(VALU_DEP_1) | instskip(SKIP_2) | instid1(VALU_DEP_2)
	v_dot2acc_f32_f16 v55, v54, v17
	s_waitcnt vmcnt(1)
	v_and_or_b32 v17, v8, s18, 0x64006400
	v_dot2acc_f32_f16 v55, v53, v18
	v_and_or_b32 v18, v8, s19, 0x64006400
	v_lshrrev_b32_e32 v8, 8, v8
	s_delay_alu instid0(VALU_DEP_3) | instskip(SKIP_1) | instid1(VALU_DEP_3)
	v_dot2acc_f32_f16 v55, v51, v19
	v_and_or_b32 v51, v9, s19, 0x64006400
	v_and_or_b32 v19, v8, s18, 0x64006400
	s_delay_alu instid0(VALU_DEP_3)
	v_add_f32_e32 v16, v55, v50
	v_and_or_b32 v50, v8, s19, 0x64006400
	v_pk_fma_f16 v8, v17, v29, v37
	v_pk_fma_f16 v17, v18, v31, v41
	;; [unrolled: 1-line block ×5, first 2 shown]
	v_and_or_b32 v50, v9, s18, 0x64006400
	v_lshrrev_b32_e32 v9, 8, v9
	v_and_or_b32 v51, v10, s19, 0x64006400
	s_delay_alu instid0(VALU_DEP_2)
	v_and_or_b32 v54, v9, s18, 0x64006400
	v_and_or_b32 v55, v9, s19, 0x64006400
	v_pk_fma_f16 v9, v50, v30, v40
	v_and_or_b32 v50, v10, s18, 0x64006400
	v_lshrrev_b32_e32 v10, 8, v10
	v_pk_fma_f16 v96, v54, v30, v40
	v_pk_fma_f16 v97, v55, v32, v42
	;; [unrolled: 1-line block ×4, first 2 shown]
	v_and_or_b32 v54, v10, s18, 0x64006400
	v_and_or_b32 v10, v10, s19, 0x64006400
	;; [unrolled: 1-line block ×3, first 2 shown]
	s_delay_alu instid0(VALU_DEP_3) | instskip(NEXT) | instid1(VALU_DEP_3)
	v_pk_fma_f16 v100, v54, v33, v38
	v_pk_fma_f16 v101, v10, v34, v43
	v_and_or_b32 v10, v11, s18, 0x64006400
	v_lshrrev_b32_e32 v11, 8, v11
	v_pk_fma_f16 v103, v50, v36, v44
	s_delay_alu instid0(VALU_DEP_3) | instskip(SKIP_1) | instid1(VALU_DEP_4)
	v_pk_fma_f16 v102, v10, v35, v39
	v_mov_b32_e32 v10, 0
	v_and_or_b32 v51, v11, s18, 0x64006400
	v_and_or_b32 v11, v11, s19, 0x64006400
	s_delay_alu instid0(VALU_DEP_3) | instskip(NEXT) | instid1(VALU_DEP_3)
	v_dot2acc_f32_f16 v10, v8, v12
	v_pk_fma_f16 v104, v51, v35, v39
	s_delay_alu instid0(VALU_DEP_3) | instskip(NEXT) | instid1(VALU_DEP_3)
	v_pk_fma_f16 v105, v11, v36, v44
	v_dot2acc_f32_f16 v10, v17, v13
	s_delay_alu instid0(VALU_DEP_1) | instskip(NEXT) | instid1(VALU_DEP_1)
	v_dot2acc_f32_f16 v10, v18, v14
	v_dot2acc_f32_f16 v10, v19, v15
	s_delay_alu instid0(VALU_DEP_1) | instskip(SKIP_1) | instid1(VALU_DEP_1)
	v_add_f32_e32 v106, v49, v10
	v_mov_b32_e32 v10, 0
	v_dot2acc_f32_f16 v10, v9, v12
	s_delay_alu instid0(VALU_DEP_1) | instskip(NEXT) | instid1(VALU_DEP_1)
	v_dot2acc_f32_f16 v10, v53, v13
	v_dot2acc_f32_f16 v10, v96, v14
	s_delay_alu instid0(VALU_DEP_1) | instskip(NEXT) | instid1(VALU_DEP_1)
	v_dot2acc_f32_f16 v10, v97, v15
	v_dual_add_f32 v107, v10, v48 :: v_dual_mov_b32 v10, 0
	s_delay_alu instid0(VALU_DEP_1) | instskip(NEXT) | instid1(VALU_DEP_1)
	v_dot2acc_f32_f16 v10, v98, v12
	v_dot2acc_f32_f16 v10, v99, v13
	s_delay_alu instid0(VALU_DEP_1) | instskip(NEXT) | instid1(VALU_DEP_1)
	v_dot2acc_f32_f16 v10, v100, v14
	v_dot2acc_f32_f16 v10, v101, v15
	s_delay_alu instid0(VALU_DEP_1) | instskip(SKIP_1) | instid1(VALU_DEP_1)
	v_add_f32_e32 v108, v10, v47
	v_mov_b32_e32 v10, 0
	v_dot2acc_f32_f16 v10, v102, v12
	s_delay_alu instid0(VALU_DEP_1) | instskip(NEXT) | instid1(VALU_DEP_1)
	v_dot2acc_f32_f16 v10, v103, v13
	v_dot2acc_f32_f16 v10, v104, v14
	v_mov_b32_e32 v14, 0
	s_delay_alu instid0(VALU_DEP_2) | instskip(NEXT) | instid1(VALU_DEP_1)
	v_dot2acc_f32_f16 v10, v105, v15
	v_add_f32_e32 v109, v10, v46
	ds_load_b128 v[10:13], v45 offset:560
	ds_load_b128 v[46:49], v45 offset:3728
	s_waitcnt lgkmcnt(1)
	v_dot2acc_f32_f16 v14, v8, v10
	s_delay_alu instid0(VALU_DEP_1) | instskip(NEXT) | instid1(VALU_DEP_1)
	v_dot2acc_f32_f16 v14, v17, v11
	v_dot2acc_f32_f16 v14, v18, v12
	s_delay_alu instid0(VALU_DEP_1) | instskip(NEXT) | instid1(VALU_DEP_1)
	v_dot2acc_f32_f16 v14, v19, v13
	v_add_f32_e32 v50, v70, v14
	v_mov_b32_e32 v14, 0
	s_delay_alu instid0(VALU_DEP_1) | instskip(NEXT) | instid1(VALU_DEP_1)
	v_dot2acc_f32_f16 v14, v9, v10
	v_dot2acc_f32_f16 v14, v53, v11
	s_delay_alu instid0(VALU_DEP_1) | instskip(NEXT) | instid1(VALU_DEP_1)
	v_dot2acc_f32_f16 v14, v96, v12
	v_dot2acc_f32_f16 v14, v97, v13
	s_delay_alu instid0(VALU_DEP_1) | instskip(NEXT) | instid1(VALU_DEP_1)
	v_dual_add_f32 v51, v14, v71 :: v_dual_mov_b32 v14, 0
	v_dot2acc_f32_f16 v14, v98, v10
	s_delay_alu instid0(VALU_DEP_1) | instskip(NEXT) | instid1(VALU_DEP_1)
	v_dot2acc_f32_f16 v14, v99, v11
	v_dot2acc_f32_f16 v14, v100, v12
	s_delay_alu instid0(VALU_DEP_1) | instskip(NEXT) | instid1(VALU_DEP_1)
	v_dot2acc_f32_f16 v14, v101, v13
	v_dual_add_f32 v71, v14, v72 :: v_dual_mov_b32 v14, 0
	s_delay_alu instid0(VALU_DEP_1) | instskip(NEXT) | instid1(VALU_DEP_1)
	v_dot2acc_f32_f16 v14, v102, v10
	v_dot2acc_f32_f16 v14, v103, v11
	s_delay_alu instid0(VALU_DEP_1) | instskip(NEXT) | instid1(VALU_DEP_1)
	v_dot2acc_f32_f16 v14, v104, v12
	v_dot2acc_f32_f16 v14, v105, v13
	ds_load_b128 v[10:13], v45 offset:1088
	v_add_f32_e32 v72, v14, v73
	v_mov_b32_e32 v14, 0
	s_waitcnt lgkmcnt(0)
	s_delay_alu instid0(VALU_DEP_1) | instskip(NEXT) | instid1(VALU_DEP_1)
	v_dot2acc_f32_f16 v14, v8, v10
	v_dot2acc_f32_f16 v14, v17, v11
	s_delay_alu instid0(VALU_DEP_1) | instskip(NEXT) | instid1(VALU_DEP_1)
	v_dot2acc_f32_f16 v14, v18, v12
	v_dot2acc_f32_f16 v14, v19, v13
	s_delay_alu instid0(VALU_DEP_1) | instskip(NEXT) | instid1(VALU_DEP_1)
	v_dual_add_f32 v67, v74, v14 :: v_dual_mov_b32 v14, 0
	v_dot2acc_f32_f16 v14, v9, v10
	s_delay_alu instid0(VALU_DEP_1) | instskip(NEXT) | instid1(VALU_DEP_1)
	v_dot2acc_f32_f16 v14, v53, v11
	v_dot2acc_f32_f16 v14, v96, v12
	s_delay_alu instid0(VALU_DEP_1) | instskip(NEXT) | instid1(VALU_DEP_1)
	v_dot2acc_f32_f16 v14, v97, v13
	v_add_f32_e32 v68, v14, v75
	v_mov_b32_e32 v14, 0
	s_delay_alu instid0(VALU_DEP_1) | instskip(NEXT) | instid1(VALU_DEP_1)
	v_dot2acc_f32_f16 v14, v98, v10
	v_dot2acc_f32_f16 v14, v99, v11
	s_delay_alu instid0(VALU_DEP_1) | instskip(NEXT) | instid1(VALU_DEP_1)
	v_dot2acc_f32_f16 v14, v100, v12
	v_dot2acc_f32_f16 v14, v101, v13
	s_delay_alu instid0(VALU_DEP_1) | instskip(NEXT) | instid1(VALU_DEP_1)
	v_dual_add_f32 v69, v14, v76 :: v_dual_mov_b32 v14, 0
	v_dot2acc_f32_f16 v14, v102, v10
	s_delay_alu instid0(VALU_DEP_1) | instskip(NEXT) | instid1(VALU_DEP_1)
	v_dot2acc_f32_f16 v14, v103, v11
	v_dot2acc_f32_f16 v14, v104, v12
	s_delay_alu instid0(VALU_DEP_1) | instskip(SKIP_4) | instid1(VALU_DEP_1)
	v_dot2acc_f32_f16 v14, v105, v13
	ds_load_b128 v[10:13], v45 offset:1616
	v_add_f32_e32 v70, v14, v77
	v_mov_b32_e32 v14, 0
	s_waitcnt lgkmcnt(0)
	v_dot2acc_f32_f16 v14, v8, v10
	s_delay_alu instid0(VALU_DEP_1) | instskip(NEXT) | instid1(VALU_DEP_1)
	v_dot2acc_f32_f16 v14, v17, v11
	v_dot2acc_f32_f16 v14, v18, v12
	s_delay_alu instid0(VALU_DEP_1) | instskip(NEXT) | instid1(VALU_DEP_1)
	v_dot2acc_f32_f16 v14, v19, v13
	v_dual_add_f32 v63, v86, v14 :: v_dual_mov_b32 v14, 0
	s_delay_alu instid0(VALU_DEP_1) | instskip(NEXT) | instid1(VALU_DEP_1)
	v_dot2acc_f32_f16 v14, v9, v10
	v_dot2acc_f32_f16 v14, v53, v11
	s_delay_alu instid0(VALU_DEP_1) | instskip(NEXT) | instid1(VALU_DEP_1)
	v_dot2acc_f32_f16 v14, v96, v12
	v_dot2acc_f32_f16 v14, v97, v13
	s_delay_alu instid0(VALU_DEP_1) | instskip(SKIP_1) | instid1(VALU_DEP_1)
	v_add_f32_e32 v64, v14, v87
	v_mov_b32_e32 v14, 0
	v_dot2acc_f32_f16 v14, v98, v10
	s_delay_alu instid0(VALU_DEP_1) | instskip(NEXT) | instid1(VALU_DEP_1)
	v_dot2acc_f32_f16 v14, v99, v11
	v_dot2acc_f32_f16 v14, v100, v12
	s_delay_alu instid0(VALU_DEP_1) | instskip(NEXT) | instid1(VALU_DEP_1)
	v_dot2acc_f32_f16 v14, v101, v13
	v_dual_add_f32 v65, v14, v88 :: v_dual_mov_b32 v14, 0
	s_delay_alu instid0(VALU_DEP_1) | instskip(NEXT) | instid1(VALU_DEP_1)
	v_dot2acc_f32_f16 v14, v102, v10
	v_dot2acc_f32_f16 v14, v103, v11
	s_delay_alu instid0(VALU_DEP_1) | instskip(NEXT) | instid1(VALU_DEP_1)
	v_dot2acc_f32_f16 v14, v104, v12
	v_dot2acc_f32_f16 v14, v105, v13
	ds_load_b128 v[10:13], v45 offset:2144
	v_add_f32_e32 v66, v14, v89
	v_mov_b32_e32 v14, 0
	s_waitcnt lgkmcnt(0)
	s_delay_alu instid0(VALU_DEP_1) | instskip(NEXT) | instid1(VALU_DEP_1)
	v_dot2acc_f32_f16 v14, v8, v10
	v_dot2acc_f32_f16 v14, v17, v11
	s_delay_alu instid0(VALU_DEP_1) | instskip(NEXT) | instid1(VALU_DEP_1)
	v_dot2acc_f32_f16 v14, v18, v12
	v_dot2acc_f32_f16 v14, v19, v13
	s_delay_alu instid0(VALU_DEP_1) | instskip(NEXT) | instid1(VALU_DEP_1)
	v_dual_add_f32 v59, v90, v14 :: v_dual_mov_b32 v14, 0
	v_dot2acc_f32_f16 v14, v9, v10
	s_delay_alu instid0(VALU_DEP_1) | instskip(NEXT) | instid1(VALU_DEP_1)
	v_dot2acc_f32_f16 v14, v53, v11
	v_dot2acc_f32_f16 v14, v96, v12
	s_delay_alu instid0(VALU_DEP_1) | instskip(NEXT) | instid1(VALU_DEP_1)
	v_dot2acc_f32_f16 v14, v97, v13
	v_add_f32_e32 v60, v14, v91
	v_mov_b32_e32 v14, 0
	s_delay_alu instid0(VALU_DEP_1) | instskip(NEXT) | instid1(VALU_DEP_1)
	v_dot2acc_f32_f16 v14, v98, v10
	v_dot2acc_f32_f16 v14, v99, v11
	s_delay_alu instid0(VALU_DEP_1) | instskip(NEXT) | instid1(VALU_DEP_1)
	v_dot2acc_f32_f16 v14, v100, v12
	v_dot2acc_f32_f16 v14, v101, v13
	s_delay_alu instid0(VALU_DEP_1) | instskip(NEXT) | instid1(VALU_DEP_1)
	v_dual_add_f32 v61, v14, v92 :: v_dual_mov_b32 v14, 0
	v_dot2acc_f32_f16 v14, v102, v10
	s_delay_alu instid0(VALU_DEP_1) | instskip(NEXT) | instid1(VALU_DEP_1)
	v_dot2acc_f32_f16 v14, v103, v11
	v_dot2acc_f32_f16 v14, v104, v12
	s_delay_alu instid0(VALU_DEP_1) | instskip(SKIP_4) | instid1(VALU_DEP_1)
	v_dot2acc_f32_f16 v14, v105, v13
	ds_load_b128 v[10:13], v45 offset:2672
	v_add_f32_e32 v62, v14, v93
	v_mov_b32_e32 v14, 0
	s_waitcnt lgkmcnt(0)
	v_dot2acc_f32_f16 v14, v8, v10
	s_delay_alu instid0(VALU_DEP_1) | instskip(NEXT) | instid1(VALU_DEP_1)
	v_dot2acc_f32_f16 v14, v17, v11
	v_dot2acc_f32_f16 v14, v18, v12
	s_delay_alu instid0(VALU_DEP_1) | instskip(NEXT) | instid1(VALU_DEP_1)
	v_dot2acc_f32_f16 v14, v19, v13
	v_add_f32_e32 v56, v82, v14
	v_mov_b32_e32 v14, 0
	s_delay_alu instid0(VALU_DEP_1) | instskip(NEXT) | instid1(VALU_DEP_1)
	v_dot2acc_f32_f16 v14, v9, v10
	v_dot2acc_f32_f16 v14, v53, v11
	s_delay_alu instid0(VALU_DEP_1) | instskip(NEXT) | instid1(VALU_DEP_1)
	v_dot2acc_f32_f16 v14, v96, v12
	v_dot2acc_f32_f16 v14, v97, v13
	s_delay_alu instid0(VALU_DEP_1) | instskip(NEXT) | instid1(VALU_DEP_1)
	v_dual_add_f32 v57, v14, v83 :: v_dual_mov_b32 v14, 0
	v_dot2acc_f32_f16 v14, v98, v10
	s_delay_alu instid0(VALU_DEP_1) | instskip(NEXT) | instid1(VALU_DEP_1)
	v_dot2acc_f32_f16 v14, v99, v11
	v_dot2acc_f32_f16 v14, v100, v12
	s_delay_alu instid0(VALU_DEP_1) | instskip(NEXT) | instid1(VALU_DEP_1)
	v_dot2acc_f32_f16 v14, v101, v13
	v_add_f32_e32 v58, v14, v84
	v_mov_b32_e32 v14, 0
	s_delay_alu instid0(VALU_DEP_1) | instskip(NEXT) | instid1(VALU_DEP_1)
	v_dot2acc_f32_f16 v14, v102, v10
	v_dot2acc_f32_f16 v14, v103, v11
	s_delay_alu instid0(VALU_DEP_1) | instskip(NEXT) | instid1(VALU_DEP_1)
	v_dot2acc_f32_f16 v14, v104, v12
	v_dot2acc_f32_f16 v14, v105, v13
	ds_load_b128 v[10:13], v45 offset:3200
	v_add_f32_e32 v84, v14, v85
	v_mov_b32_e32 v14, 0
	s_waitcnt lgkmcnt(0)
	s_delay_alu instid0(VALU_DEP_1) | instskip(NEXT) | instid1(VALU_DEP_1)
	v_dot2acc_f32_f16 v14, v8, v10
	v_dot2acc_f32_f16 v14, v17, v11
	s_delay_alu instid0(VALU_DEP_1) | instskip(NEXT) | instid1(VALU_DEP_1)
	v_dot2acc_f32_f16 v14, v18, v12
	v_dot2acc_f32_f16 v14, v19, v13
	s_delay_alu instid0(VALU_DEP_1) | instskip(SKIP_1) | instid1(VALU_DEP_1)
	v_add_f32_e32 v54, v78, v14
	v_mov_b32_e32 v14, 0
	v_dot2acc_f32_f16 v14, v9, v10
	s_delay_alu instid0(VALU_DEP_1) | instskip(NEXT) | instid1(VALU_DEP_1)
	v_dot2acc_f32_f16 v14, v53, v11
	v_dot2acc_f32_f16 v14, v96, v12
	s_delay_alu instid0(VALU_DEP_1) | instskip(NEXT) | instid1(VALU_DEP_1)
	v_dot2acc_f32_f16 v14, v97, v13
	v_dual_add_f32 v55, v14, v79 :: v_dual_mov_b32 v14, 0
	s_delay_alu instid0(VALU_DEP_1) | instskip(NEXT) | instid1(VALU_DEP_1)
	v_dot2acc_f32_f16 v14, v98, v10
	v_dot2acc_f32_f16 v14, v99, v11
	s_delay_alu instid0(VALU_DEP_1) | instskip(NEXT) | instid1(VALU_DEP_1)
	v_dot2acc_f32_f16 v14, v100, v12
	v_dot2acc_f32_f16 v14, v101, v13
	s_delay_alu instid0(VALU_DEP_1) | instskip(SKIP_1) | instid1(VALU_DEP_1)
	v_add_f32_e32 v82, v14, v80
	v_mov_b32_e32 v14, 0
	v_dot2acc_f32_f16 v14, v102, v10
	v_mov_b32_e32 v10, 0
	s_delay_alu instid0(VALU_DEP_2) | instskip(NEXT) | instid1(VALU_DEP_2)
	v_dot2acc_f32_f16 v14, v103, v11
	v_dot2acc_f32_f16 v10, v8, v46
	v_mov_b32_e32 v8, 0
	s_delay_alu instid0(VALU_DEP_3) | instskip(NEXT) | instid1(VALU_DEP_3)
	v_dot2acc_f32_f16 v14, v104, v12
	v_dot2acc_f32_f16 v10, v17, v47
	s_delay_alu instid0(VALU_DEP_3)
	v_dot2acc_f32_f16 v8, v9, v46
	s_waitcnt vmcnt(0)
	v_and_or_b32 v9, v0, s18, 0x64006400
	v_dot2acc_f32_f16 v14, v105, v13
	v_dot2acc_f32_f16 v10, v18, v48
	;; [unrolled: 1-line block ×3, first 2 shown]
	s_delay_alu instid0(VALU_DEP_4) | instskip(SKIP_4) | instid1(VALU_DEP_4)
	v_pk_fma_f16 v74, v9, v29, v37
	v_and_or_b32 v9, v1, s19, 0x64006400
	v_add_f32_e32 v83, v14, v81
	v_dot2acc_f32_f16 v10, v19, v49
	v_dot2acc_f32_f16 v8, v96, v48
	v_pk_fma_f16 v76, v9, v32, v42
	s_delay_alu instid0(VALU_DEP_2) | instskip(SKIP_2) | instid1(VALU_DEP_3)
	v_dual_add_f32 v15, v94, v10 :: v_dual_dot2acc_f32_f16 v8, v97, v49
	v_and_or_b32 v10, v0, s19, 0x64006400
	v_lshrrev_b32_e32 v0, 8, v0
	v_dual_add_f32 v13, v8, v95 :: v_dual_mov_b32 v8, 0
	s_delay_alu instid0(VALU_DEP_2) | instskip(SKIP_2) | instid1(VALU_DEP_4)
	v_and_or_b32 v12, v0, s18, 0x64006400
	v_and_or_b32 v0, v0, s19, 0x64006400
	v_pk_fma_f16 v79, v10, v31, v41
	v_dot2acc_f32_f16 v8, v98, v46
	s_delay_alu instid0(VALU_DEP_4) | instskip(NEXT) | instid1(VALU_DEP_4)
	v_pk_fma_f16 v80, v12, v29, v37
	v_pk_fma_f16 v81, v0, v31, v41
	v_and_or_b32 v0, v1, s18, 0x64006400
	v_lshrrev_b32_e32 v1, 8, v1
	v_dot2acc_f32_f16 v8, v99, v47
	s_delay_alu instid0(VALU_DEP_3) | instskip(SKIP_1) | instid1(VALU_DEP_3)
	v_pk_fma_f16 v75, v0, v30, v40
	v_and_or_b32 v0, v2, s18, 0x64006400
	v_dot2acc_f32_f16 v8, v100, v48
	v_and_or_b32 v10, v1, s18, 0x64006400
	v_and_or_b32 v1, v1, s19, 0x64006400
	s_delay_alu instid0(VALU_DEP_3) | instskip(NEXT) | instid1(VALU_DEP_3)
	v_dot2acc_f32_f16 v8, v101, v49
	v_pk_fma_f16 v77, v10, v30, v40
	s_delay_alu instid0(VALU_DEP_3) | instskip(SKIP_3) | instid1(VALU_DEP_3)
	v_pk_fma_f16 v78, v1, v32, v42
	v_and_or_b32 v1, v2, s19, 0x64006400
	v_lshrrev_b32_e32 v2, 8, v2
	v_dual_add_f32 v11, v8, v52 :: v_dual_mov_b32 v8, 0
	v_pk_fma_f16 v17, v1, v34, v43
	s_delay_alu instid0(VALU_DEP_3) | instskip(SKIP_1) | instid1(VALU_DEP_4)
	v_and_or_b32 v9, v2, s18, 0x64006400
	v_and_or_b32 v2, v2, s19, 0x64006400
	v_dot2acc_f32_f16 v8, v102, v46
	v_and_or_b32 v1, v3, s19, 0x64006400
	s_delay_alu instid0(VALU_DEP_4) | instskip(NEXT) | instid1(VALU_DEP_4)
	v_pk_fma_f16 v18, v9, v33, v38
	v_pk_fma_f16 v19, v2, v34, v43
	s_delay_alu instid0(VALU_DEP_4) | instskip(SKIP_2) | instid1(VALU_DEP_3)
	v_dot2acc_f32_f16 v8, v103, v47
	v_lshrrev_b32_e32 v2, 8, v3
	v_pk_fma_f16 v12, v1, v36, v44
	v_dot2acc_f32_f16 v8, v104, v48
	s_delay_alu instid0(VALU_DEP_1) | instskip(NEXT) | instid1(VALU_DEP_1)
	v_dot2acc_f32_f16 v8, v105, v49
	v_add_f32_e32 v8, v8, v16
	v_pk_fma_f16 v16, v0, v33, v38
	v_and_or_b32 v0, v3, s18, 0x64006400
	v_and_or_b32 v3, v2, s18, 0x64006400
	v_and_or_b32 v2, v2, s19, 0x64006400
	s_delay_alu instid0(VALU_DEP_3) | instskip(SKIP_1) | instid1(VALU_DEP_4)
	v_pk_fma_f16 v14, v0, v35, v39
	v_mov_b32_e32 v0, 0
	v_pk_fma_f16 v10, v3, v35, v39
	s_delay_alu instid0(VALU_DEP_4) | instskip(NEXT) | instid1(VALU_DEP_3)
	v_pk_fma_f16 v9, v2, v36, v44
	v_dot2acc_f32_f16 v0, v74, v4
	s_delay_alu instid0(VALU_DEP_1) | instskip(NEXT) | instid1(VALU_DEP_1)
	v_dot2acc_f32_f16 v0, v79, v5
	v_dot2acc_f32_f16 v0, v80, v6
	s_delay_alu instid0(VALU_DEP_1) | instskip(NEXT) | instid1(VALU_DEP_1)
	v_dot2acc_f32_f16 v0, v81, v7
	v_dual_add_f32 v49, v106, v0 :: v_dual_mov_b32 v0, 0
	s_delay_alu instid0(VALU_DEP_1) | instskip(NEXT) | instid1(VALU_DEP_1)
	v_dot2acc_f32_f16 v0, v75, v4
	v_dot2acc_f32_f16 v0, v76, v5
	s_delay_alu instid0(VALU_DEP_1) | instskip(NEXT) | instid1(VALU_DEP_1)
	v_dot2acc_f32_f16 v0, v77, v6
	v_dot2acc_f32_f16 v0, v78, v7
	s_delay_alu instid0(VALU_DEP_1) | instskip(SKIP_1) | instid1(VALU_DEP_1)
	v_add_f32_e32 v48, v0, v107
	v_mov_b32_e32 v0, 0
	v_dot2acc_f32_f16 v0, v16, v4
	s_delay_alu instid0(VALU_DEP_1) | instskip(NEXT) | instid1(VALU_DEP_1)
	v_dot2acc_f32_f16 v0, v17, v5
	v_dot2acc_f32_f16 v0, v18, v6
	s_delay_alu instid0(VALU_DEP_1) | instskip(NEXT) | instid1(VALU_DEP_1)
	v_dot2acc_f32_f16 v0, v19, v7
	v_dual_add_f32 v47, v0, v108 :: v_dual_mov_b32 v0, 0
	s_delay_alu instid0(VALU_DEP_1) | instskip(SKIP_1) | instid1(VALU_DEP_2)
	v_dot2acc_f32_f16 v0, v14, v4
	v_mov_b32_e32 v4, 0
	v_dot2acc_f32_f16 v0, v12, v5
	s_delay_alu instid0(VALU_DEP_1) | instskip(NEXT) | instid1(VALU_DEP_1)
	v_dot2acc_f32_f16 v0, v10, v6
	v_dot2acc_f32_f16 v0, v9, v7
	s_delay_alu instid0(VALU_DEP_1) | instskip(SKIP_3) | instid1(VALU_DEP_1)
	v_add_f32_e32 v46, v0, v109
	ds_load_b128 v[0:3], v45 offset:576
	s_waitcnt lgkmcnt(0)
	v_dot2acc_f32_f16 v4, v74, v0
	v_dot2acc_f32_f16 v4, v79, v1
	s_delay_alu instid0(VALU_DEP_1) | instskip(NEXT) | instid1(VALU_DEP_1)
	v_dot2acc_f32_f16 v4, v80, v2
	v_dot2acc_f32_f16 v4, v81, v3
	s_delay_alu instid0(VALU_DEP_1) | instskip(NEXT) | instid1(VALU_DEP_1)
	v_dual_add_f32 v53, v50, v4 :: v_dual_mov_b32 v4, 0
	v_dot2acc_f32_f16 v4, v75, v0
	s_delay_alu instid0(VALU_DEP_1) | instskip(NEXT) | instid1(VALU_DEP_1)
	v_dot2acc_f32_f16 v4, v76, v1
	v_dot2acc_f32_f16 v4, v77, v2
	s_delay_alu instid0(VALU_DEP_1) | instskip(NEXT) | instid1(VALU_DEP_1)
	v_dot2acc_f32_f16 v4, v78, v3
	v_add_f32_e32 v52, v4, v51
	v_mov_b32_e32 v4, 0
	s_delay_alu instid0(VALU_DEP_1) | instskip(NEXT) | instid1(VALU_DEP_1)
	v_dot2acc_f32_f16 v4, v16, v0
	v_dot2acc_f32_f16 v4, v17, v1
	s_delay_alu instid0(VALU_DEP_1) | instskip(NEXT) | instid1(VALU_DEP_1)
	v_dot2acc_f32_f16 v4, v18, v2
	v_dot2acc_f32_f16 v4, v19, v3
	s_delay_alu instid0(VALU_DEP_1) | instskip(NEXT) | instid1(VALU_DEP_1)
	v_dual_add_f32 v51, v4, v71 :: v_dual_mov_b32 v4, 0
	v_dot2acc_f32_f16 v4, v14, v0
	s_delay_alu instid0(VALU_DEP_1) | instskip(NEXT) | instid1(VALU_DEP_1)
	v_dot2acc_f32_f16 v4, v12, v1
	v_dot2acc_f32_f16 v4, v10, v2
	s_delay_alu instid0(VALU_DEP_1) | instskip(SKIP_4) | instid1(VALU_DEP_1)
	v_dot2acc_f32_f16 v4, v9, v3
	ds_load_b128 v[0:3], v45 offset:1104
	v_add_f32_e32 v50, v4, v72
	v_mov_b32_e32 v4, 0
	s_waitcnt lgkmcnt(0)
	v_dot2acc_f32_f16 v4, v74, v0
	s_delay_alu instid0(VALU_DEP_1) | instskip(NEXT) | instid1(VALU_DEP_1)
	v_dot2acc_f32_f16 v4, v79, v1
	v_dot2acc_f32_f16 v4, v80, v2
	s_delay_alu instid0(VALU_DEP_1) | instskip(NEXT) | instid1(VALU_DEP_1)
	v_dot2acc_f32_f16 v4, v81, v3
	v_dual_add_f32 v73, v67, v4 :: v_dual_mov_b32 v4, 0
	s_delay_alu instid0(VALU_DEP_1) | instskip(NEXT) | instid1(VALU_DEP_1)
	v_dot2acc_f32_f16 v4, v75, v0
	v_dot2acc_f32_f16 v4, v76, v1
	s_delay_alu instid0(VALU_DEP_1) | instskip(NEXT) | instid1(VALU_DEP_1)
	v_dot2acc_f32_f16 v4, v77, v2
	v_dot2acc_f32_f16 v4, v78, v3
	s_delay_alu instid0(VALU_DEP_1) | instskip(SKIP_1) | instid1(VALU_DEP_1)
	v_add_f32_e32 v72, v4, v68
	v_mov_b32_e32 v4, 0
	v_dot2acc_f32_f16 v4, v16, v0
	s_delay_alu instid0(VALU_DEP_1) | instskip(NEXT) | instid1(VALU_DEP_1)
	v_dot2acc_f32_f16 v4, v17, v1
	v_dot2acc_f32_f16 v4, v18, v2
	s_delay_alu instid0(VALU_DEP_1) | instskip(NEXT) | instid1(VALU_DEP_1)
	v_dot2acc_f32_f16 v4, v19, v3
	v_dual_add_f32 v71, v4, v69 :: v_dual_mov_b32 v4, 0
	s_delay_alu instid0(VALU_DEP_1) | instskip(NEXT) | instid1(VALU_DEP_1)
	v_dot2acc_f32_f16 v4, v14, v0
	v_dot2acc_f32_f16 v4, v12, v1
	s_delay_alu instid0(VALU_DEP_1) | instskip(NEXT) | instid1(VALU_DEP_1)
	v_dot2acc_f32_f16 v4, v10, v2
	v_dot2acc_f32_f16 v4, v9, v3
	ds_load_b128 v[0:3], v45 offset:1632
	v_add_f32_e32 v70, v4, v70
	v_mov_b32_e32 v4, 0
	s_waitcnt lgkmcnt(0)
	s_delay_alu instid0(VALU_DEP_1) | instskip(NEXT) | instid1(VALU_DEP_1)
	v_dot2acc_f32_f16 v4, v74, v0
	v_dot2acc_f32_f16 v4, v79, v1
	s_delay_alu instid0(VALU_DEP_1) | instskip(NEXT) | instid1(VALU_DEP_1)
	v_dot2acc_f32_f16 v4, v80, v2
	v_dot2acc_f32_f16 v4, v81, v3
	s_delay_alu instid0(VALU_DEP_1) | instskip(NEXT) | instid1(VALU_DEP_1)
	v_dual_add_f32 v69, v63, v4 :: v_dual_mov_b32 v4, 0
	v_dot2acc_f32_f16 v4, v75, v0
	s_delay_alu instid0(VALU_DEP_1) | instskip(NEXT) | instid1(VALU_DEP_1)
	v_dot2acc_f32_f16 v4, v76, v1
	v_dot2acc_f32_f16 v4, v77, v2
	s_delay_alu instid0(VALU_DEP_1) | instskip(NEXT) | instid1(VALU_DEP_1)
	v_dot2acc_f32_f16 v4, v78, v3
	v_add_f32_e32 v68, v4, v64
	v_mov_b32_e32 v4, 0
	s_delay_alu instid0(VALU_DEP_1) | instskip(NEXT) | instid1(VALU_DEP_1)
	v_dot2acc_f32_f16 v4, v16, v0
	v_dot2acc_f32_f16 v4, v17, v1
	s_delay_alu instid0(VALU_DEP_1) | instskip(NEXT) | instid1(VALU_DEP_1)
	v_dot2acc_f32_f16 v4, v18, v2
	v_dot2acc_f32_f16 v4, v19, v3
	s_delay_alu instid0(VALU_DEP_1) | instskip(NEXT) | instid1(VALU_DEP_1)
	v_dual_add_f32 v67, v4, v65 :: v_dual_mov_b32 v4, 0
	v_dot2acc_f32_f16 v4, v14, v0
	s_delay_alu instid0(VALU_DEP_1) | instskip(NEXT) | instid1(VALU_DEP_1)
	v_dot2acc_f32_f16 v4, v12, v1
	v_dot2acc_f32_f16 v4, v10, v2
	s_delay_alu instid0(VALU_DEP_1) | instskip(SKIP_4) | instid1(VALU_DEP_1)
	v_dot2acc_f32_f16 v4, v9, v3
	ds_load_b128 v[0:3], v45 offset:2160
	v_add_f32_e32 v66, v4, v66
	v_mov_b32_e32 v4, 0
	s_waitcnt lgkmcnt(0)
	v_dot2acc_f32_f16 v4, v74, v0
	s_delay_alu instid0(VALU_DEP_1) | instskip(NEXT) | instid1(VALU_DEP_1)
	v_dot2acc_f32_f16 v4, v79, v1
	v_dot2acc_f32_f16 v4, v80, v2
	s_delay_alu instid0(VALU_DEP_1) | instskip(NEXT) | instid1(VALU_DEP_1)
	v_dot2acc_f32_f16 v4, v81, v3
	v_dual_add_f32 v65, v59, v4 :: v_dual_mov_b32 v4, 0
	s_delay_alu instid0(VALU_DEP_1) | instskip(NEXT) | instid1(VALU_DEP_1)
	v_dot2acc_f32_f16 v4, v75, v0
	v_dot2acc_f32_f16 v4, v76, v1
	s_delay_alu instid0(VALU_DEP_1) | instskip(NEXT) | instid1(VALU_DEP_1)
	v_dot2acc_f32_f16 v4, v77, v2
	v_dot2acc_f32_f16 v4, v78, v3
	s_delay_alu instid0(VALU_DEP_1) | instskip(SKIP_1) | instid1(VALU_DEP_1)
	v_add_f32_e32 v64, v4, v60
	v_mov_b32_e32 v4, 0
	v_dot2acc_f32_f16 v4, v16, v0
	s_delay_alu instid0(VALU_DEP_1) | instskip(NEXT) | instid1(VALU_DEP_1)
	v_dot2acc_f32_f16 v4, v17, v1
	v_dot2acc_f32_f16 v4, v18, v2
	s_delay_alu instid0(VALU_DEP_1) | instskip(NEXT) | instid1(VALU_DEP_1)
	v_dot2acc_f32_f16 v4, v19, v3
	v_dual_add_f32 v63, v4, v61 :: v_dual_mov_b32 v4, 0
	s_delay_alu instid0(VALU_DEP_1) | instskip(NEXT) | instid1(VALU_DEP_1)
	v_dot2acc_f32_f16 v4, v14, v0
	v_dot2acc_f32_f16 v4, v12, v1
	s_delay_alu instid0(VALU_DEP_1) | instskip(NEXT) | instid1(VALU_DEP_1)
	v_dot2acc_f32_f16 v4, v10, v2
	v_dot2acc_f32_f16 v4, v9, v3
	ds_load_b128 v[0:3], v45 offset:2688
	v_add_f32_e32 v62, v4, v62
	v_mov_b32_e32 v4, 0
	s_waitcnt lgkmcnt(0)
	s_delay_alu instid0(VALU_DEP_1) | instskip(NEXT) | instid1(VALU_DEP_1)
	v_dot2acc_f32_f16 v4, v74, v0
	v_dot2acc_f32_f16 v4, v79, v1
	s_delay_alu instid0(VALU_DEP_1) | instskip(NEXT) | instid1(VALU_DEP_1)
	v_dot2acc_f32_f16 v4, v80, v2
	v_dot2acc_f32_f16 v4, v81, v3
	s_delay_alu instid0(VALU_DEP_1) | instskip(NEXT) | instid1(VALU_DEP_1)
	v_dual_add_f32 v61, v56, v4 :: v_dual_mov_b32 v4, 0
	v_dot2acc_f32_f16 v4, v75, v0
	s_delay_alu instid0(VALU_DEP_1) | instskip(NEXT) | instid1(VALU_DEP_1)
	v_dot2acc_f32_f16 v4, v76, v1
	v_dot2acc_f32_f16 v4, v77, v2
	s_delay_alu instid0(VALU_DEP_1) | instskip(NEXT) | instid1(VALU_DEP_1)
	v_dot2acc_f32_f16 v4, v78, v3
	v_add_f32_e32 v60, v4, v57
	v_mov_b32_e32 v4, 0
	s_delay_alu instid0(VALU_DEP_1) | instskip(NEXT) | instid1(VALU_DEP_1)
	v_dot2acc_f32_f16 v4, v16, v0
	v_dot2acc_f32_f16 v4, v17, v1
	s_delay_alu instid0(VALU_DEP_1) | instskip(NEXT) | instid1(VALU_DEP_1)
	v_dot2acc_f32_f16 v4, v18, v2
	v_dot2acc_f32_f16 v4, v19, v3
	s_delay_alu instid0(VALU_DEP_1) | instskip(NEXT) | instid1(VALU_DEP_1)
	v_dual_add_f32 v59, v4, v58 :: v_dual_mov_b32 v4, 0
	v_dot2acc_f32_f16 v4, v14, v0
	s_delay_alu instid0(VALU_DEP_1) | instskip(NEXT) | instid1(VALU_DEP_1)
	v_dot2acc_f32_f16 v4, v12, v1
	v_dot2acc_f32_f16 v4, v10, v2
	s_delay_alu instid0(VALU_DEP_1) | instskip(SKIP_4) | instid1(VALU_DEP_1)
	v_dot2acc_f32_f16 v4, v9, v3
	ds_load_b128 v[0:3], v45 offset:3216
	v_add_f32_e32 v58, v4, v84
	v_mov_b32_e32 v4, 0
	s_waitcnt lgkmcnt(0)
	v_dot2acc_f32_f16 v4, v74, v0
	s_delay_alu instid0(VALU_DEP_1) | instskip(NEXT) | instid1(VALU_DEP_1)
	v_dot2acc_f32_f16 v4, v79, v1
	v_dot2acc_f32_f16 v4, v80, v2
	s_delay_alu instid0(VALU_DEP_1) | instskip(NEXT) | instid1(VALU_DEP_1)
	v_dot2acc_f32_f16 v4, v81, v3
	v_dual_add_f32 v57, v54, v4 :: v_dual_mov_b32 v4, 0
	s_delay_alu instid0(VALU_DEP_1) | instskip(NEXT) | instid1(VALU_DEP_1)
	v_dot2acc_f32_f16 v4, v75, v0
	v_dot2acc_f32_f16 v4, v76, v1
	s_delay_alu instid0(VALU_DEP_1) | instskip(NEXT) | instid1(VALU_DEP_1)
	v_dot2acc_f32_f16 v4, v77, v2
	v_dot2acc_f32_f16 v4, v78, v3
	s_delay_alu instid0(VALU_DEP_1) | instskip(SKIP_1) | instid1(VALU_DEP_1)
	v_add_f32_e32 v56, v4, v55
	v_mov_b32_e32 v4, 0
	v_dot2acc_f32_f16 v4, v16, v0
	s_delay_alu instid0(VALU_DEP_1) | instskip(NEXT) | instid1(VALU_DEP_1)
	v_dot2acc_f32_f16 v4, v17, v1
	v_dot2acc_f32_f16 v4, v18, v2
	s_delay_alu instid0(VALU_DEP_1) | instskip(NEXT) | instid1(VALU_DEP_1)
	v_dot2acc_f32_f16 v4, v19, v3
	v_dual_add_f32 v55, v4, v82 :: v_dual_mov_b32 v4, 0
	s_delay_alu instid0(VALU_DEP_1) | instskip(NEXT) | instid1(VALU_DEP_1)
	v_dot2acc_f32_f16 v4, v14, v0
	v_dot2acc_f32_f16 v4, v12, v1
	s_delay_alu instid0(VALU_DEP_1) | instskip(NEXT) | instid1(VALU_DEP_1)
	v_dot2acc_f32_f16 v4, v10, v2
	v_dot2acc_f32_f16 v4, v9, v3
	ds_load_b128 v[0:3], v45 offset:3744
	v_add_f32_e32 v54, v4, v83
	v_mov_b32_e32 v4, 0
	s_waitcnt lgkmcnt(0)
	s_delay_alu instid0(VALU_DEP_1) | instskip(NEXT) | instid1(VALU_DEP_1)
	v_dot2acc_f32_f16 v4, v74, v0
	v_dot2acc_f32_f16 v4, v79, v1
	s_delay_alu instid0(VALU_DEP_1) | instskip(NEXT) | instid1(VALU_DEP_1)
	v_dot2acc_f32_f16 v4, v80, v2
	v_dot2acc_f32_f16 v4, v81, v3
	s_delay_alu instid0(VALU_DEP_1) | instskip(SKIP_1) | instid1(VALU_DEP_1)
	v_add_f32_e32 v74, v15, v4
	v_mov_b32_e32 v4, 0
	v_dot2acc_f32_f16 v4, v75, v0
	s_delay_alu instid0(VALU_DEP_1) | instskip(NEXT) | instid1(VALU_DEP_1)
	v_dot2acc_f32_f16 v4, v76, v1
	v_dot2acc_f32_f16 v4, v77, v2
	s_delay_alu instid0(VALU_DEP_1) | instskip(NEXT) | instid1(VALU_DEP_1)
	v_dot2acc_f32_f16 v4, v78, v3
	v_dual_add_f32 v75, v4, v13 :: v_dual_mov_b32 v4, 0
	s_delay_alu instid0(VALU_DEP_1) | instskip(NEXT) | instid1(VALU_DEP_1)
	v_dot2acc_f32_f16 v4, v16, v0
	v_dot2acc_f32_f16 v4, v17, v1
	s_delay_alu instid0(VALU_DEP_1) | instskip(NEXT) | instid1(VALU_DEP_1)
	v_dot2acc_f32_f16 v4, v18, v2
	v_dot2acc_f32_f16 v4, v19, v3
	s_delay_alu instid0(VALU_DEP_1) | instskip(SKIP_1) | instid1(VALU_DEP_1)
	v_add_f32_e32 v76, v4, v11
	v_mov_b32_e32 v4, 0
	v_dot2acc_f32_f16 v4, v14, v0
	s_delay_alu instid0(VALU_DEP_1) | instskip(NEXT) | instid1(VALU_DEP_1)
	v_dot2acc_f32_f16 v4, v12, v1
	v_dot2acc_f32_f16 v4, v10, v2
	s_delay_alu instid0(VALU_DEP_1) | instskip(NEXT) | instid1(VALU_DEP_1)
	v_dot2acc_f32_f16 v4, v9, v3
	v_add_f32_e32 v77, v4, v8
	s_cbranch_scc1 .LBB3_29
.LBB3_27:                               ; =>This Inner Loop Header: Depth=1
	s_cmp_lg_u32 s28, s9
	s_cbranch_scc1 .LBB3_26
; %bb.28:                               ;   in Loop: Header=BB3_27 Depth=1
	s_add_i32 s20, s20, 1
	s_add_i32 s9, s9, s13
	s_mul_i32 s22, s20, s14
	s_mul_i32 s30, s20, s5
	s_ashr_i32 s23, s22, 31
	s_ashr_i32 s31, s30, 31
	s_lshl_b64 s[22:23], s[22:23], 2
	s_delay_alu instid0(SALU_CYCLE_1) | instskip(SKIP_2) | instid1(SALU_CYCLE_1)
	v_add_co_u32 v0, vcc_lo, v27, s22
	v_add_co_ci_u32_e32 v1, vcc_lo, s23, v28, vcc_lo
	s_lshl_b64 s[22:23], s[30:31], 1
	v_add_co_u32 v2, vcc_lo, v25, s22
	v_add_co_ci_u32_e32 v3, vcc_lo, s23, v26, vcc_lo
	global_load_b32 v4, v[0:1], off
	global_load_b64 v[0:1], v[2:3], off
	s_waitcnt vmcnt(1)
	v_lshrrev_b32_e32 v2, v24, v4
	v_bfe_u32 v3, v4, v24, 4
	s_waitcnt vmcnt(0)
	v_alignbit_b32 v4, s0, v0, 16
	v_alignbit_b32 v5, s0, v1, 16
	v_perm_b32 v29, v0, v0, 0x5040100
	v_bfe_u32 v6, v2, 4, 4
	v_add_nc_u32_e32 v3, 1, v3
	v_bfe_u32 v7, v2, 8, 4
	v_bfe_u32 v2, v2, 12, 4
	v_pk_mul_f16 v31, 0x2c00, v0 op_sel_hi:[0,0]
	v_add_nc_u32_e32 v6, 1, v6
	v_cvt_f32_ubyte0_e32 v8, v3
	v_or_b32_e32 v3, 0xffffe400, v3
	v_add_nc_u32_e32 v7, 1, v7
	v_add_nc_u32_e32 v2, 1, v2
	v_or_b32_e32 v9, 0xffffe400, v6
	v_cvt_f32_ubyte0_e32 v6, v6
	v_pk_mul_f16 v3, v0, v3
	v_or_b32_e32 v10, 0xffffe400, v7
	v_cvt_f32_ubyte0_e32 v7, v7
	v_or_b32_e32 v11, 0xffffe400, v2
	v_cvt_f32_ubyte0_e32 v2, v2
	v_cvt_f16_f32_e32 v8, v8
	v_pack_b32_f16 v37, v3, v3
	v_cvt_f16_f32_e32 v3, v6
	v_cvt_f16_f32_e32 v7, v7
	;; [unrolled: 1-line block ×3, first 2 shown]
	v_sub_f16_e32 v8, 0xd400, v8
	v_perm_b32 v30, v0, v0, 0x7060302
	v_sub_f16_e32 v3, 0xd400, v3
	v_sub_f16_e32 v7, 0xd400, v7
	;; [unrolled: 1-line block ×3, first 2 shown]
	v_pk_mul_f16 v32, 0x2c00, v0 op_sel:[0,1] op_sel_hi:[0,1]
	v_pk_mul_f16 v6, v4, v9
	v_pk_mul_f16 v9, v1, v10
	;; [unrolled: 1-line block ×7, first 2 shown]
	v_perm_b32 v33, v1, v1, 0x5040100
	v_pk_mul_f16 v34, 0x2c00, v1 op_sel_hi:[0,0]
	v_perm_b32 v35, v1, v1, 0x7060302
	v_pack_b32_f16 v40, v6, v6
	v_pack_b32_f16 v38, v9, v9
	;; [unrolled: 1-line block ×7, first 2 shown]
	v_pk_mul_f16 v36, 0x2c00, v1 op_sel:[0,1] op_sel_hi:[0,1]
	s_branch .LBB3_26
.LBB3_29:
	s_bitcmp1_b32 s2, 0
	v_add_co_u32 v6, vcc_lo, s16, v20
	s_cselect_b32 s2, -1, 0
	s_cmp_lg_u64 s[24:25], 0
	v_add_co_ci_u32_e32 v7, vcc_lo, s17, v21, vcc_lo
	s_cselect_b32 s5, -1, 0
	s_delay_alu instid0(SALU_CYCLE_1) | instskip(SKIP_4) | instid1(SALU_CYCLE_1)
	s_and_b32 s14, s5, s2
	s_cmp_gt_i32 s3, 0
	v_cndmask_b32_e64 v8, 0, 1, s14
	s_cselect_b32 s2, -1, 0
	s_ashr_i32 s13, s12, 31
	s_lshl_b64 s[6:7], s[12:13], 2
	s_delay_alu instid0(VALU_DEP_1)
	v_cmp_ne_u32_e32 vcc_lo, 1, v8
	s_add_u32 s6, s26, s6
	s_addc_u32 s7, s27, s7
	s_abs_i32 s5, s8
	s_load_b32 s10, s[6:7], 0x0
	v_cvt_f32_u32_e32 v0, s5
	s_sub_i32 s9, 0, s5
	s_ashr_i32 s12, s8, 31
	s_delay_alu instid0(VALU_DEP_1) | instskip(SKIP_2) | instid1(VALU_DEP_1)
	v_rcp_iflag_f32_e32 v0, v0
	s_waitcnt_depctr 0xfff
	v_mul_f32_e32 v0, 0x4f7ffffe, v0
	v_cvt_u32_f32_e32 v0, v0
	s_delay_alu instid0(VALU_DEP_1) | instskip(NEXT) | instid1(VALU_DEP_1)
	v_readfirstlane_b32 s13, v0
	s_mul_i32 s9, s9, s13
	s_delay_alu instid0(SALU_CYCLE_1)
	s_mul_hi_u32 s11, s13, s9
	s_waitcnt lgkmcnt(0)
	s_abs_i32 s9, s10
	s_add_i32 s13, s13, s11
	s_ashr_i32 s11, s10, 31
	s_mul_hi_u32 s8, s9, s13
	s_xor_b32 s18, s11, s12
	s_mul_i32 s15, s8, s5
	s_add_i32 s19, s8, 1
	s_sub_i32 s15, s9, s15
	s_delay_alu instid0(SALU_CYCLE_1)
	s_sub_i32 s20, s15, s5
	s_cmp_ge_u32 s15, s5
	s_cselect_b32 s8, s19, s8
	s_cselect_b32 s15, s20, s15
	s_add_i32 s19, s8, 1
	s_cmp_ge_u32 s15, s5
	s_cselect_b32 s8, s19, s8
	s_delay_alu instid0(SALU_CYCLE_1) | instskip(NEXT) | instid1(SALU_CYCLE_1)
	s_xor_b32 s8, s8, s18
	s_sub_i32 s8, s8, s18
	s_delay_alu instid0(SALU_CYCLE_1)
	s_cmp_lt_i32 s8, s4
	s_cbranch_scc0 .LBB3_37
; %bb.30:
	s_and_b32 vcc_lo, exec_lo, vcc_lo
	s_cbranch_vccnz .LBB3_32
; %bb.31:
	s_lshl_b64 s[16:17], s[10:11], 2
	s_delay_alu instid0(SALU_CYCLE_1)
	s_add_u32 s16, s24, s16
	s_addc_u32 s17, s25, s17
	s_load_b32 s8, s[16:17], 0x0
	s_waitcnt lgkmcnt(0)
	v_dual_mul_f32 v49, s8, v49 :: v_dual_mul_f32 v48, s8, v48
	v_dual_mul_f32 v47, s8, v47 :: v_dual_mul_f32 v46, s8, v46
.LBB3_32:
	s_and_not1_b32 vcc_lo, exec_lo, s2
	s_cbranch_vccnz .LBB3_34
; %bb.33:
	s_abs_i32 s8, s3
	s_delay_alu instid0(SALU_CYCLE_1) | instskip(SKIP_1) | instid1(VALU_DEP_1)
	v_cvt_f32_u32_e32 v0, s8
	s_sub_i32 s15, 0, s8
	v_rcp_iflag_f32_e32 v0, v0
	s_waitcnt_depctr 0xfff
	v_mul_f32_e32 v0, 0x4f7ffffe, v0
	s_delay_alu instid0(VALU_DEP_1) | instskip(NEXT) | instid1(VALU_DEP_1)
	v_cvt_u32_f32_e32 v0, v0
	v_readfirstlane_b32 s10, v0
	s_delay_alu instid0(VALU_DEP_1) | instskip(NEXT) | instid1(SALU_CYCLE_1)
	s_mul_i32 s15, s15, s10
	s_mul_hi_u32 s15, s10, s15
	s_delay_alu instid0(SALU_CYCLE_1)
	s_add_i32 s10, s10, s15
	s_ashr_i32 s15, s3, 31
	s_mul_hi_u32 s10, s9, s10
	s_xor_b32 s11, s11, s15
	s_mul_i32 s16, s10, s8
	s_add_i32 s15, s10, 1
	s_sub_i32 s9, s9, s16
	s_delay_alu instid0(SALU_CYCLE_1)
	s_sub_i32 s16, s9, s8
	s_cmp_ge_u32 s9, s8
	s_cselect_b32 s10, s15, s10
	s_cselect_b32 s9, s16, s9
	s_add_i32 s15, s10, 1
	s_cmp_ge_u32 s9, s8
	s_cselect_b32 s8, s15, s10
	s_delay_alu instid0(SALU_CYCLE_1) | instskip(NEXT) | instid1(SALU_CYCLE_1)
	s_xor_b32 s8, s8, s11
	s_sub_i32 s10, s8, s11
.LBB3_34:
	s_delay_alu instid0(SALU_CYCLE_1)
	s_ashr_i32 s8, s10, 31
	s_mul_hi_u32 s9, s0, s10
	s_mul_i32 s8, s0, s8
	s_mul_i32 s11, s1, s10
	s_add_i32 s9, s9, s8
	s_mul_i32 s8, s0, s10
	s_add_i32 s9, s9, s11
	v_cvt_f16_f32_e32 v0, v49
	s_lshl_b64 s[8:9], s[8:9], 1
	v_cvt_f16_f32_e32 v1, v48
	v_add_co_u32 v4, vcc_lo, v6, s8
	v_add_co_ci_u32_e32 v5, vcc_lo, s9, v7, vcc_lo
	v_cvt_f16_f32_e32 v10, v47
	v_cvt_f16_f32_e32 v11, v46
	v_pack_b32_f16 v9, v0, v1
	global_load_b64 v[2:3], v[4:5], off
	s_mov_b32 s8, 0
	v_pack_b32_f16 v10, v10, v11
.LBB3_35:                               ; =>This Inner Loop Header: Depth=1
	s_waitcnt vmcnt(0)
	v_pk_add_f16 v0, v9, v2
	s_delay_alu instid0(VALU_DEP_2)
	v_pk_add_f16 v1, v10, v3
	global_atomic_cmpswap_b64 v[0:1], v[4:5], v[0:3], off glc
	s_waitcnt vmcnt(0)
	v_cmp_eq_u64_e32 vcc_lo, v[0:1], v[2:3]
	v_dual_mov_b32 v3, v1 :: v_dual_mov_b32 v2, v0
	s_or_b32 s8, vcc_lo, s8
	s_delay_alu instid0(SALU_CYCLE_1)
	s_and_not1_b32 exec_lo, exec_lo, s8
	s_cbranch_execnz .LBB3_35
; %bb.36:
	s_or_b32 exec_lo, exec_lo, s8
.LBB3_37:
	s_load_b32 s8, s[6:7], 0x4
	s_waitcnt lgkmcnt(0)
	s_abs_i32 s10, s8
	s_ashr_i32 s9, s8, 31
	s_mul_hi_u32 s11, s10, s13
	s_xor_b32 s16, s9, s12
	s_mul_i32 s15, s11, s5
	s_add_i32 s17, s11, 1
	s_sub_i32 s15, s10, s15
	s_delay_alu instid0(SALU_CYCLE_1)
	s_sub_i32 s18, s15, s5
	s_cmp_ge_u32 s15, s5
	s_cselect_b32 s11, s17, s11
	s_cselect_b32 s15, s18, s15
	s_add_i32 s17, s11, 1
	s_cmp_ge_u32 s15, s5
	s_cselect_b32 s11, s17, s11
	s_delay_alu instid0(SALU_CYCLE_1) | instskip(NEXT) | instid1(SALU_CYCLE_1)
	s_xor_b32 s11, s11, s16
	s_sub_i32 s11, s11, s16
	s_delay_alu instid0(SALU_CYCLE_1)
	s_cmp_ge_i32 s11, s4
	s_cbranch_scc1 .LBB3_45
; %bb.38:
	s_and_not1_b32 vcc_lo, exec_lo, s14
	s_cbranch_vccnz .LBB3_40
; %bb.39:
	s_lshl_b64 s[14:15], s[8:9], 2
	s_delay_alu instid0(SALU_CYCLE_1)
	s_add_u32 s14, s24, s14
	s_addc_u32 s15, s25, s15
	s_load_b32 s11, s[14:15], 0x0
	s_waitcnt lgkmcnt(0)
	v_dual_mul_f32 v53, s11, v53 :: v_dual_mul_f32 v52, s11, v52
	v_dual_mul_f32 v51, s11, v51 :: v_dual_mul_f32 v50, s11, v50
.LBB3_40:
	s_and_not1_b32 vcc_lo, exec_lo, s2
	s_cbranch_vccnz .LBB3_42
; %bb.41:
	s_abs_i32 s8, s3
	s_delay_alu instid0(SALU_CYCLE_1) | instskip(SKIP_1) | instid1(VALU_DEP_1)
	v_cvt_f32_u32_e32 v0, s8
	s_sub_i32 s14, 0, s8
	v_rcp_iflag_f32_e32 v0, v0
	s_waitcnt_depctr 0xfff
	v_mul_f32_e32 v0, 0x4f7ffffe, v0
	s_delay_alu instid0(VALU_DEP_1) | instskip(NEXT) | instid1(VALU_DEP_1)
	v_cvt_u32_f32_e32 v0, v0
	v_readfirstlane_b32 s11, v0
	s_delay_alu instid0(VALU_DEP_1) | instskip(NEXT) | instid1(SALU_CYCLE_1)
	s_mul_i32 s14, s14, s11
	s_mul_hi_u32 s14, s11, s14
	s_delay_alu instid0(SALU_CYCLE_1)
	s_add_i32 s11, s11, s14
	s_ashr_i32 s14, s3, 31
	s_mul_hi_u32 s11, s10, s11
	s_xor_b32 s9, s9, s14
	s_mul_i32 s15, s11, s8
	s_add_i32 s14, s11, 1
	s_sub_i32 s10, s10, s15
	s_delay_alu instid0(SALU_CYCLE_1)
	s_sub_i32 s15, s10, s8
	s_cmp_ge_u32 s10, s8
	s_cselect_b32 s11, s14, s11
	s_cselect_b32 s10, s15, s10
	s_add_i32 s14, s11, 1
	s_cmp_ge_u32 s10, s8
	s_cselect_b32 s8, s14, s11
	s_delay_alu instid0(SALU_CYCLE_1) | instskip(NEXT) | instid1(SALU_CYCLE_1)
	s_xor_b32 s8, s8, s9
	s_sub_i32 s8, s8, s9
.LBB3_42:
	s_delay_alu instid0(SALU_CYCLE_1)
	s_ashr_i32 s9, s8, 31
	s_mul_hi_u32 s10, s0, s8
	s_mul_i32 s9, s0, s9
	s_mul_i32 s11, s1, s8
	s_add_i32 s9, s10, s9
	s_mul_i32 s8, s0, s8
	s_add_i32 s9, s9, s11
	v_cvt_f16_f32_e32 v0, v53
	s_lshl_b64 s[8:9], s[8:9], 1
	v_cvt_f16_f32_e32 v1, v52
	v_add_co_u32 v4, vcc_lo, v6, s8
	v_add_co_ci_u32_e32 v5, vcc_lo, s9, v7, vcc_lo
	v_cvt_f16_f32_e32 v10, v51
	v_cvt_f16_f32_e32 v11, v50
	v_pack_b32_f16 v9, v0, v1
	global_load_b64 v[2:3], v[4:5], off
	s_mov_b32 s8, 0
	v_pack_b32_f16 v10, v10, v11
.LBB3_43:                               ; =>This Inner Loop Header: Depth=1
	s_waitcnt vmcnt(0)
	v_pk_add_f16 v0, v9, v2
	s_delay_alu instid0(VALU_DEP_2)
	v_pk_add_f16 v1, v10, v3
	global_atomic_cmpswap_b64 v[0:1], v[4:5], v[0:3], off glc
	s_waitcnt vmcnt(0)
	v_cmp_eq_u64_e32 vcc_lo, v[0:1], v[2:3]
	v_dual_mov_b32 v3, v1 :: v_dual_mov_b32 v2, v0
	s_or_b32 s8, vcc_lo, s8
	s_delay_alu instid0(SALU_CYCLE_1)
	s_and_not1_b32 exec_lo, exec_lo, s8
	s_cbranch_execnz .LBB3_43
; %bb.44:
	s_or_b32 exec_lo, exec_lo, s8
.LBB3_45:
	s_load_b32 s8, s[6:7], 0x8
	s_waitcnt lgkmcnt(0)
	s_abs_i32 s10, s8
	s_ashr_i32 s9, s8, 31
	s_mul_hi_u32 s11, s10, s13
	s_xor_b32 s15, s9, s12
	s_mul_i32 s14, s11, s5
	s_add_i32 s16, s11, 1
	s_sub_i32 s14, s10, s14
	s_delay_alu instid0(SALU_CYCLE_1)
	s_sub_i32 s17, s14, s5
	s_cmp_ge_u32 s14, s5
	s_cselect_b32 s11, s16, s11
	s_cselect_b32 s14, s17, s14
	s_add_i32 s16, s11, 1
	s_cmp_ge_u32 s14, s5
	s_cselect_b32 s11, s16, s11
	s_delay_alu instid0(SALU_CYCLE_1) | instskip(NEXT) | instid1(SALU_CYCLE_1)
	s_xor_b32 s11, s11, s15
	s_sub_i32 s11, s11, s15
	s_delay_alu instid0(SALU_CYCLE_1)
	s_cmp_ge_i32 s11, s4
	s_cbranch_scc1 .LBB3_53
; %bb.46:
	v_cmp_ne_u32_e32 vcc_lo, 1, v8
	s_cbranch_vccnz .LBB3_48
; %bb.47:
	s_lshl_b64 s[14:15], s[8:9], 2
	s_delay_alu instid0(SALU_CYCLE_1)
	s_add_u32 s14, s24, s14
	s_addc_u32 s15, s25, s15
	s_load_b32 s11, s[14:15], 0x0
	s_waitcnt lgkmcnt(0)
	v_dual_mul_f32 v73, s11, v73 :: v_dual_mul_f32 v72, s11, v72
	v_dual_mul_f32 v71, s11, v71 :: v_dual_mul_f32 v70, s11, v70
.LBB3_48:
	s_and_not1_b32 vcc_lo, exec_lo, s2
	s_cbranch_vccnz .LBB3_50
; %bb.49:
	s_abs_i32 s8, s3
	s_delay_alu instid0(SALU_CYCLE_1) | instskip(SKIP_1) | instid1(VALU_DEP_1)
	v_cvt_f32_u32_e32 v0, s8
	s_sub_i32 s14, 0, s8
	v_rcp_iflag_f32_e32 v0, v0
	s_waitcnt_depctr 0xfff
	v_mul_f32_e32 v0, 0x4f7ffffe, v0
	s_delay_alu instid0(VALU_DEP_1) | instskip(NEXT) | instid1(VALU_DEP_1)
	v_cvt_u32_f32_e32 v0, v0
	v_readfirstlane_b32 s11, v0
	s_delay_alu instid0(VALU_DEP_1) | instskip(NEXT) | instid1(SALU_CYCLE_1)
	s_mul_i32 s14, s14, s11
	s_mul_hi_u32 s14, s11, s14
	s_delay_alu instid0(SALU_CYCLE_1)
	s_add_i32 s11, s11, s14
	s_ashr_i32 s14, s3, 31
	s_mul_hi_u32 s11, s10, s11
	s_xor_b32 s9, s9, s14
	s_mul_i32 s15, s11, s8
	s_add_i32 s14, s11, 1
	s_sub_i32 s10, s10, s15
	s_delay_alu instid0(SALU_CYCLE_1)
	s_sub_i32 s15, s10, s8
	s_cmp_ge_u32 s10, s8
	s_cselect_b32 s11, s14, s11
	s_cselect_b32 s10, s15, s10
	s_add_i32 s14, s11, 1
	s_cmp_ge_u32 s10, s8
	s_cselect_b32 s8, s14, s11
	s_delay_alu instid0(SALU_CYCLE_1) | instskip(NEXT) | instid1(SALU_CYCLE_1)
	s_xor_b32 s8, s8, s9
	s_sub_i32 s8, s8, s9
.LBB3_50:
	s_delay_alu instid0(SALU_CYCLE_1)
	s_ashr_i32 s9, s8, 31
	s_mul_hi_u32 s10, s0, s8
	s_mul_i32 s9, s0, s9
	s_mul_i32 s11, s1, s8
	s_add_i32 s9, s10, s9
	s_mul_i32 s8, s0, s8
	s_add_i32 s9, s9, s11
	v_cvt_f16_f32_e32 v0, v73
	s_lshl_b64 s[8:9], s[8:9], 1
	v_cvt_f16_f32_e32 v1, v72
	v_add_co_u32 v4, vcc_lo, v6, s8
	v_add_co_ci_u32_e32 v5, vcc_lo, s9, v7, vcc_lo
	v_cvt_f16_f32_e32 v10, v71
	v_cvt_f16_f32_e32 v11, v70
	v_pack_b32_f16 v9, v0, v1
	global_load_b64 v[2:3], v[4:5], off
	s_mov_b32 s8, 0
	v_pack_b32_f16 v10, v10, v11
.LBB3_51:                               ; =>This Inner Loop Header: Depth=1
	s_waitcnt vmcnt(0)
	v_pk_add_f16 v0, v9, v2
	s_delay_alu instid0(VALU_DEP_2)
	v_pk_add_f16 v1, v10, v3
	global_atomic_cmpswap_b64 v[0:1], v[4:5], v[0:3], off glc
	s_waitcnt vmcnt(0)
	v_cmp_eq_u64_e32 vcc_lo, v[0:1], v[2:3]
	v_dual_mov_b32 v3, v1 :: v_dual_mov_b32 v2, v0
	s_or_b32 s8, vcc_lo, s8
	s_delay_alu instid0(SALU_CYCLE_1)
	s_and_not1_b32 exec_lo, exec_lo, s8
	s_cbranch_execnz .LBB3_51
; %bb.52:
	s_or_b32 exec_lo, exec_lo, s8
.LBB3_53:
	s_load_b32 s8, s[6:7], 0xc
	s_waitcnt lgkmcnt(0)
	s_abs_i32 s10, s8
	s_ashr_i32 s9, s8, 31
	s_mul_hi_u32 s11, s10, s13
	s_xor_b32 s15, s9, s12
	s_mul_i32 s14, s11, s5
	s_add_i32 s16, s11, 1
	s_sub_i32 s14, s10, s14
	s_delay_alu instid0(SALU_CYCLE_1)
	s_sub_i32 s17, s14, s5
	s_cmp_ge_u32 s14, s5
	s_cselect_b32 s11, s16, s11
	s_cselect_b32 s14, s17, s14
	s_add_i32 s16, s11, 1
	s_cmp_ge_u32 s14, s5
	s_cselect_b32 s11, s16, s11
	s_delay_alu instid0(SALU_CYCLE_1) | instskip(NEXT) | instid1(SALU_CYCLE_1)
	s_xor_b32 s11, s11, s15
	s_sub_i32 s11, s11, s15
	s_delay_alu instid0(SALU_CYCLE_1)
	s_cmp_ge_i32 s11, s4
	s_cbranch_scc1 .LBB3_61
; %bb.54:
	v_cmp_ne_u32_e32 vcc_lo, 1, v8
	s_cbranch_vccnz .LBB3_56
; %bb.55:
	s_lshl_b64 s[14:15], s[8:9], 2
	s_delay_alu instid0(SALU_CYCLE_1)
	s_add_u32 s14, s24, s14
	s_addc_u32 s15, s25, s15
	s_load_b32 s11, s[14:15], 0x0
	s_waitcnt lgkmcnt(0)
	v_dual_mul_f32 v69, s11, v69 :: v_dual_mul_f32 v68, s11, v68
	v_dual_mul_f32 v67, s11, v67 :: v_dual_mul_f32 v66, s11, v66
.LBB3_56:
	s_and_not1_b32 vcc_lo, exec_lo, s2
	s_cbranch_vccnz .LBB3_58
; %bb.57:
	s_abs_i32 s8, s3
	s_delay_alu instid0(SALU_CYCLE_1) | instskip(SKIP_1) | instid1(VALU_DEP_1)
	v_cvt_f32_u32_e32 v0, s8
	s_sub_i32 s14, 0, s8
	v_rcp_iflag_f32_e32 v0, v0
	s_waitcnt_depctr 0xfff
	v_mul_f32_e32 v0, 0x4f7ffffe, v0
	s_delay_alu instid0(VALU_DEP_1) | instskip(NEXT) | instid1(VALU_DEP_1)
	v_cvt_u32_f32_e32 v0, v0
	v_readfirstlane_b32 s11, v0
	s_delay_alu instid0(VALU_DEP_1) | instskip(NEXT) | instid1(SALU_CYCLE_1)
	s_mul_i32 s14, s14, s11
	s_mul_hi_u32 s14, s11, s14
	s_delay_alu instid0(SALU_CYCLE_1)
	s_add_i32 s11, s11, s14
	s_ashr_i32 s14, s3, 31
	s_mul_hi_u32 s11, s10, s11
	s_xor_b32 s9, s9, s14
	s_mul_i32 s15, s11, s8
	s_add_i32 s14, s11, 1
	s_sub_i32 s10, s10, s15
	s_delay_alu instid0(SALU_CYCLE_1)
	s_sub_i32 s15, s10, s8
	s_cmp_ge_u32 s10, s8
	s_cselect_b32 s11, s14, s11
	s_cselect_b32 s10, s15, s10
	s_add_i32 s14, s11, 1
	s_cmp_ge_u32 s10, s8
	s_cselect_b32 s8, s14, s11
	s_delay_alu instid0(SALU_CYCLE_1) | instskip(NEXT) | instid1(SALU_CYCLE_1)
	s_xor_b32 s8, s8, s9
	s_sub_i32 s8, s8, s9
.LBB3_58:
	s_delay_alu instid0(SALU_CYCLE_1)
	s_ashr_i32 s9, s8, 31
	s_mul_hi_u32 s10, s0, s8
	s_mul_i32 s9, s0, s9
	s_mul_i32 s11, s1, s8
	s_add_i32 s9, s10, s9
	s_mul_i32 s8, s0, s8
	s_add_i32 s9, s9, s11
	v_cvt_f16_f32_e32 v0, v69
	s_lshl_b64 s[8:9], s[8:9], 1
	v_cvt_f16_f32_e32 v1, v68
	v_add_co_u32 v4, vcc_lo, v6, s8
	v_add_co_ci_u32_e32 v5, vcc_lo, s9, v7, vcc_lo
	v_cvt_f16_f32_e32 v10, v67
	v_cvt_f16_f32_e32 v11, v66
	v_pack_b32_f16 v9, v0, v1
	global_load_b64 v[2:3], v[4:5], off
	s_mov_b32 s8, 0
	v_pack_b32_f16 v10, v10, v11
.LBB3_59:                               ; =>This Inner Loop Header: Depth=1
	s_waitcnt vmcnt(0)
	v_pk_add_f16 v0, v9, v2
	s_delay_alu instid0(VALU_DEP_2)
	v_pk_add_f16 v1, v10, v3
	global_atomic_cmpswap_b64 v[0:1], v[4:5], v[0:3], off glc
	s_waitcnt vmcnt(0)
	v_cmp_eq_u64_e32 vcc_lo, v[0:1], v[2:3]
	v_dual_mov_b32 v3, v1 :: v_dual_mov_b32 v2, v0
	s_or_b32 s8, vcc_lo, s8
	s_delay_alu instid0(SALU_CYCLE_1)
	s_and_not1_b32 exec_lo, exec_lo, s8
	s_cbranch_execnz .LBB3_59
; %bb.60:
	s_or_b32 exec_lo, exec_lo, s8
.LBB3_61:
	s_load_b32 s8, s[6:7], 0x10
	s_waitcnt lgkmcnt(0)
	s_abs_i32 s10, s8
	s_ashr_i32 s9, s8, 31
	s_mul_hi_u32 s11, s10, s13
	s_xor_b32 s15, s9, s12
	s_mul_i32 s14, s11, s5
	s_add_i32 s16, s11, 1
	s_sub_i32 s14, s10, s14
	s_delay_alu instid0(SALU_CYCLE_1)
	s_sub_i32 s17, s14, s5
	s_cmp_ge_u32 s14, s5
	s_cselect_b32 s11, s16, s11
	s_cselect_b32 s14, s17, s14
	s_add_i32 s16, s11, 1
	s_cmp_ge_u32 s14, s5
	s_cselect_b32 s11, s16, s11
	s_delay_alu instid0(SALU_CYCLE_1) | instskip(NEXT) | instid1(SALU_CYCLE_1)
	s_xor_b32 s11, s11, s15
	s_sub_i32 s11, s11, s15
	s_delay_alu instid0(SALU_CYCLE_1)
	s_cmp_ge_i32 s11, s4
	s_cbranch_scc1 .LBB3_69
; %bb.62:
	v_cmp_ne_u32_e32 vcc_lo, 1, v8
	s_cbranch_vccnz .LBB3_64
; %bb.63:
	s_lshl_b64 s[14:15], s[8:9], 2
	s_delay_alu instid0(SALU_CYCLE_1)
	s_add_u32 s14, s24, s14
	s_addc_u32 s15, s25, s15
	s_load_b32 s11, s[14:15], 0x0
	s_waitcnt lgkmcnt(0)
	v_dual_mul_f32 v65, s11, v65 :: v_dual_mul_f32 v64, s11, v64
	v_dual_mul_f32 v63, s11, v63 :: v_dual_mul_f32 v62, s11, v62
.LBB3_64:
	s_and_not1_b32 vcc_lo, exec_lo, s2
	s_cbranch_vccnz .LBB3_66
; %bb.65:
	s_abs_i32 s8, s3
	s_delay_alu instid0(SALU_CYCLE_1) | instskip(SKIP_1) | instid1(VALU_DEP_1)
	v_cvt_f32_u32_e32 v0, s8
	s_sub_i32 s14, 0, s8
	v_rcp_iflag_f32_e32 v0, v0
	s_waitcnt_depctr 0xfff
	v_mul_f32_e32 v0, 0x4f7ffffe, v0
	s_delay_alu instid0(VALU_DEP_1) | instskip(NEXT) | instid1(VALU_DEP_1)
	v_cvt_u32_f32_e32 v0, v0
	v_readfirstlane_b32 s11, v0
	s_delay_alu instid0(VALU_DEP_1) | instskip(NEXT) | instid1(SALU_CYCLE_1)
	s_mul_i32 s14, s14, s11
	s_mul_hi_u32 s14, s11, s14
	s_delay_alu instid0(SALU_CYCLE_1)
	s_add_i32 s11, s11, s14
	s_ashr_i32 s14, s3, 31
	s_mul_hi_u32 s11, s10, s11
	s_xor_b32 s9, s9, s14
	s_mul_i32 s15, s11, s8
	s_add_i32 s14, s11, 1
	s_sub_i32 s10, s10, s15
	s_delay_alu instid0(SALU_CYCLE_1)
	s_sub_i32 s15, s10, s8
	s_cmp_ge_u32 s10, s8
	s_cselect_b32 s11, s14, s11
	s_cselect_b32 s10, s15, s10
	s_add_i32 s14, s11, 1
	s_cmp_ge_u32 s10, s8
	s_cselect_b32 s8, s14, s11
	s_delay_alu instid0(SALU_CYCLE_1) | instskip(NEXT) | instid1(SALU_CYCLE_1)
	s_xor_b32 s8, s8, s9
	s_sub_i32 s8, s8, s9
.LBB3_66:
	s_delay_alu instid0(SALU_CYCLE_1)
	s_ashr_i32 s9, s8, 31
	s_mul_hi_u32 s10, s0, s8
	s_mul_i32 s9, s0, s9
	s_mul_i32 s11, s1, s8
	s_add_i32 s9, s10, s9
	s_mul_i32 s8, s0, s8
	s_add_i32 s9, s9, s11
	v_cvt_f16_f32_e32 v0, v65
	s_lshl_b64 s[8:9], s[8:9], 1
	v_cvt_f16_f32_e32 v1, v64
	v_add_co_u32 v4, vcc_lo, v6, s8
	v_add_co_ci_u32_e32 v5, vcc_lo, s9, v7, vcc_lo
	v_cvt_f16_f32_e32 v10, v63
	v_cvt_f16_f32_e32 v11, v62
	v_pack_b32_f16 v9, v0, v1
	global_load_b64 v[2:3], v[4:5], off
	s_mov_b32 s8, 0
	v_pack_b32_f16 v10, v10, v11
.LBB3_67:                               ; =>This Inner Loop Header: Depth=1
	s_waitcnt vmcnt(0)
	v_pk_add_f16 v0, v9, v2
	s_delay_alu instid0(VALU_DEP_2)
	v_pk_add_f16 v1, v10, v3
	global_atomic_cmpswap_b64 v[0:1], v[4:5], v[0:3], off glc
	s_waitcnt vmcnt(0)
	v_cmp_eq_u64_e32 vcc_lo, v[0:1], v[2:3]
	v_dual_mov_b32 v3, v1 :: v_dual_mov_b32 v2, v0
	s_or_b32 s8, vcc_lo, s8
	s_delay_alu instid0(SALU_CYCLE_1)
	s_and_not1_b32 exec_lo, exec_lo, s8
	s_cbranch_execnz .LBB3_67
; %bb.68:
	s_or_b32 exec_lo, exec_lo, s8
.LBB3_69:
	s_load_b32 s8, s[6:7], 0x14
	s_waitcnt lgkmcnt(0)
	s_abs_i32 s10, s8
	s_ashr_i32 s9, s8, 31
	s_mul_hi_u32 s11, s10, s13
	s_xor_b32 s15, s9, s12
	s_mul_i32 s14, s11, s5
	s_add_i32 s16, s11, 1
	s_sub_i32 s14, s10, s14
	s_delay_alu instid0(SALU_CYCLE_1)
	s_sub_i32 s17, s14, s5
	s_cmp_ge_u32 s14, s5
	s_cselect_b32 s11, s16, s11
	s_cselect_b32 s14, s17, s14
	s_add_i32 s16, s11, 1
	s_cmp_ge_u32 s14, s5
	s_cselect_b32 s11, s16, s11
	s_delay_alu instid0(SALU_CYCLE_1) | instskip(NEXT) | instid1(SALU_CYCLE_1)
	s_xor_b32 s11, s11, s15
	s_sub_i32 s11, s11, s15
	s_delay_alu instid0(SALU_CYCLE_1)
	s_cmp_ge_i32 s11, s4
	s_cbranch_scc1 .LBB3_77
; %bb.70:
	v_cmp_ne_u32_e32 vcc_lo, 1, v8
	s_cbranch_vccnz .LBB3_72
; %bb.71:
	s_lshl_b64 s[14:15], s[8:9], 2
	s_delay_alu instid0(SALU_CYCLE_1)
	s_add_u32 s14, s24, s14
	s_addc_u32 s15, s25, s15
	s_load_b32 s11, s[14:15], 0x0
	s_waitcnt lgkmcnt(0)
	v_dual_mul_f32 v61, s11, v61 :: v_dual_mul_f32 v60, s11, v60
	v_dual_mul_f32 v59, s11, v59 :: v_dual_mul_f32 v58, s11, v58
.LBB3_72:
	s_and_not1_b32 vcc_lo, exec_lo, s2
	s_cbranch_vccnz .LBB3_74
; %bb.73:
	s_abs_i32 s8, s3
	s_delay_alu instid0(SALU_CYCLE_1) | instskip(SKIP_1) | instid1(VALU_DEP_1)
	v_cvt_f32_u32_e32 v0, s8
	s_sub_i32 s14, 0, s8
	v_rcp_iflag_f32_e32 v0, v0
	s_waitcnt_depctr 0xfff
	v_mul_f32_e32 v0, 0x4f7ffffe, v0
	s_delay_alu instid0(VALU_DEP_1) | instskip(NEXT) | instid1(VALU_DEP_1)
	v_cvt_u32_f32_e32 v0, v0
	v_readfirstlane_b32 s11, v0
	s_delay_alu instid0(VALU_DEP_1) | instskip(NEXT) | instid1(SALU_CYCLE_1)
	s_mul_i32 s14, s14, s11
	s_mul_hi_u32 s14, s11, s14
	s_delay_alu instid0(SALU_CYCLE_1)
	s_add_i32 s11, s11, s14
	s_ashr_i32 s14, s3, 31
	s_mul_hi_u32 s11, s10, s11
	s_xor_b32 s9, s9, s14
	s_mul_i32 s15, s11, s8
	s_add_i32 s14, s11, 1
	s_sub_i32 s10, s10, s15
	s_delay_alu instid0(SALU_CYCLE_1)
	s_sub_i32 s15, s10, s8
	s_cmp_ge_u32 s10, s8
	s_cselect_b32 s11, s14, s11
	s_cselect_b32 s10, s15, s10
	s_add_i32 s14, s11, 1
	s_cmp_ge_u32 s10, s8
	s_cselect_b32 s8, s14, s11
	s_delay_alu instid0(SALU_CYCLE_1) | instskip(NEXT) | instid1(SALU_CYCLE_1)
	s_xor_b32 s8, s8, s9
	s_sub_i32 s8, s8, s9
.LBB3_74:
	s_delay_alu instid0(SALU_CYCLE_1)
	s_ashr_i32 s9, s8, 31
	s_mul_hi_u32 s10, s0, s8
	s_mul_i32 s9, s0, s9
	s_mul_i32 s11, s1, s8
	s_add_i32 s9, s10, s9
	s_mul_i32 s8, s0, s8
	s_add_i32 s9, s9, s11
	v_cvt_f16_f32_e32 v0, v61
	s_lshl_b64 s[8:9], s[8:9], 1
	v_cvt_f16_f32_e32 v1, v60
	v_add_co_u32 v4, vcc_lo, v6, s8
	v_add_co_ci_u32_e32 v5, vcc_lo, s9, v7, vcc_lo
	v_cvt_f16_f32_e32 v10, v59
	v_cvt_f16_f32_e32 v11, v58
	v_pack_b32_f16 v9, v0, v1
	global_load_b64 v[2:3], v[4:5], off
	s_mov_b32 s8, 0
	v_pack_b32_f16 v10, v10, v11
.LBB3_75:                               ; =>This Inner Loop Header: Depth=1
	s_waitcnt vmcnt(0)
	v_pk_add_f16 v0, v9, v2
	s_delay_alu instid0(VALU_DEP_2)
	v_pk_add_f16 v1, v10, v3
	global_atomic_cmpswap_b64 v[0:1], v[4:5], v[0:3], off glc
	s_waitcnt vmcnt(0)
	v_cmp_eq_u64_e32 vcc_lo, v[0:1], v[2:3]
	v_dual_mov_b32 v3, v1 :: v_dual_mov_b32 v2, v0
	s_or_b32 s8, vcc_lo, s8
	s_delay_alu instid0(SALU_CYCLE_1)
	s_and_not1_b32 exec_lo, exec_lo, s8
	s_cbranch_execnz .LBB3_75
; %bb.76:
	s_or_b32 exec_lo, exec_lo, s8
.LBB3_77:
	s_load_b32 s8, s[6:7], 0x18
	s_waitcnt lgkmcnt(0)
	s_abs_i32 s10, s8
	s_ashr_i32 s9, s8, 31
	s_mul_hi_u32 s11, s10, s13
	s_xor_b32 s15, s9, s12
	s_mul_i32 s14, s11, s5
	s_add_i32 s16, s11, 1
	s_sub_i32 s14, s10, s14
	s_delay_alu instid0(SALU_CYCLE_1)
	s_sub_i32 s17, s14, s5
	s_cmp_ge_u32 s14, s5
	s_cselect_b32 s11, s16, s11
	s_cselect_b32 s14, s17, s14
	s_add_i32 s16, s11, 1
	s_cmp_ge_u32 s14, s5
	s_cselect_b32 s11, s16, s11
	s_delay_alu instid0(SALU_CYCLE_1) | instskip(NEXT) | instid1(SALU_CYCLE_1)
	s_xor_b32 s11, s11, s15
	s_sub_i32 s11, s11, s15
	s_delay_alu instid0(SALU_CYCLE_1)
	s_cmp_ge_i32 s11, s4
	s_cbranch_scc1 .LBB3_85
; %bb.78:
	v_cmp_ne_u32_e32 vcc_lo, 1, v8
	s_cbranch_vccnz .LBB3_80
; %bb.79:
	s_lshl_b64 s[14:15], s[8:9], 2
	s_delay_alu instid0(SALU_CYCLE_1)
	s_add_u32 s14, s24, s14
	s_addc_u32 s15, s25, s15
	s_load_b32 s11, s[14:15], 0x0
	s_waitcnt lgkmcnt(0)
	v_dual_mul_f32 v57, s11, v57 :: v_dual_mul_f32 v56, s11, v56
	v_dual_mul_f32 v55, s11, v55 :: v_dual_mul_f32 v54, s11, v54
.LBB3_80:
	s_and_not1_b32 vcc_lo, exec_lo, s2
	s_cbranch_vccnz .LBB3_82
; %bb.81:
	s_abs_i32 s8, s3
	s_delay_alu instid0(SALU_CYCLE_1) | instskip(SKIP_1) | instid1(VALU_DEP_1)
	v_cvt_f32_u32_e32 v0, s8
	s_sub_i32 s14, 0, s8
	v_rcp_iflag_f32_e32 v0, v0
	s_waitcnt_depctr 0xfff
	v_mul_f32_e32 v0, 0x4f7ffffe, v0
	s_delay_alu instid0(VALU_DEP_1) | instskip(NEXT) | instid1(VALU_DEP_1)
	v_cvt_u32_f32_e32 v0, v0
	v_readfirstlane_b32 s11, v0
	s_delay_alu instid0(VALU_DEP_1) | instskip(NEXT) | instid1(SALU_CYCLE_1)
	s_mul_i32 s14, s14, s11
	s_mul_hi_u32 s14, s11, s14
	s_delay_alu instid0(SALU_CYCLE_1)
	s_add_i32 s11, s11, s14
	s_ashr_i32 s14, s3, 31
	s_mul_hi_u32 s11, s10, s11
	s_xor_b32 s9, s9, s14
	s_mul_i32 s15, s11, s8
	s_add_i32 s14, s11, 1
	s_sub_i32 s10, s10, s15
	s_delay_alu instid0(SALU_CYCLE_1)
	s_sub_i32 s15, s10, s8
	s_cmp_ge_u32 s10, s8
	s_cselect_b32 s11, s14, s11
	s_cselect_b32 s10, s15, s10
	s_add_i32 s14, s11, 1
	s_cmp_ge_u32 s10, s8
	s_cselect_b32 s8, s14, s11
	s_delay_alu instid0(SALU_CYCLE_1) | instskip(NEXT) | instid1(SALU_CYCLE_1)
	s_xor_b32 s8, s8, s9
	s_sub_i32 s8, s8, s9
.LBB3_82:
	s_delay_alu instid0(SALU_CYCLE_1)
	s_ashr_i32 s9, s8, 31
	s_mul_hi_u32 s10, s0, s8
	s_mul_i32 s9, s0, s9
	s_mul_i32 s11, s1, s8
	s_add_i32 s9, s10, s9
	s_mul_i32 s8, s0, s8
	s_add_i32 s9, s9, s11
	v_cvt_f16_f32_e32 v0, v57
	s_lshl_b64 s[8:9], s[8:9], 1
	v_cvt_f16_f32_e32 v1, v56
	v_add_co_u32 v4, vcc_lo, v6, s8
	v_add_co_ci_u32_e32 v5, vcc_lo, s9, v7, vcc_lo
	v_cvt_f16_f32_e32 v10, v55
	v_cvt_f16_f32_e32 v11, v54
	v_pack_b32_f16 v9, v0, v1
	global_load_b64 v[2:3], v[4:5], off
	s_mov_b32 s8, 0
	v_pack_b32_f16 v10, v10, v11
.LBB3_83:                               ; =>This Inner Loop Header: Depth=1
	s_waitcnt vmcnt(0)
	v_pk_add_f16 v0, v9, v2
	s_delay_alu instid0(VALU_DEP_2)
	v_pk_add_f16 v1, v10, v3
	global_atomic_cmpswap_b64 v[0:1], v[4:5], v[0:3], off glc
	s_waitcnt vmcnt(0)
	v_cmp_eq_u64_e32 vcc_lo, v[0:1], v[2:3]
	v_dual_mov_b32 v3, v1 :: v_dual_mov_b32 v2, v0
	s_or_b32 s8, vcc_lo, s8
	s_delay_alu instid0(SALU_CYCLE_1)
	s_and_not1_b32 exec_lo, exec_lo, s8
	s_cbranch_execnz .LBB3_83
; %bb.84:
	s_or_b32 exec_lo, exec_lo, s8
.LBB3_85:
	s_load_b32 s6, s[6:7], 0x1c
	s_waitcnt lgkmcnt(0)
	s_abs_i32 s8, s6
	s_ashr_i32 s7, s6, 31
	s_mul_hi_u32 s9, s8, s13
	s_xor_b32 s11, s7, s12
	s_mul_i32 s10, s9, s5
	s_add_i32 s12, s9, 1
	s_sub_i32 s10, s8, s10
	s_delay_alu instid0(SALU_CYCLE_1)
	s_sub_i32 s13, s10, s5
	s_cmp_ge_u32 s10, s5
	s_cselect_b32 s9, s12, s9
	s_cselect_b32 s10, s13, s10
	s_add_i32 s12, s9, 1
	s_cmp_ge_u32 s10, s5
	s_cselect_b32 s5, s12, s9
	s_delay_alu instid0(SALU_CYCLE_1) | instskip(NEXT) | instid1(SALU_CYCLE_1)
	s_xor_b32 s5, s5, s11
	s_sub_i32 s5, s5, s11
	s_delay_alu instid0(SALU_CYCLE_1)
	s_cmp_ge_i32 s5, s4
	s_cbranch_scc1 .LBB3_92
; %bb.86:
	v_cmp_ne_u32_e32 vcc_lo, 1, v8
	s_cbranch_vccnz .LBB3_88
; %bb.87:
	s_lshl_b64 s[4:5], s[6:7], 2
	s_delay_alu instid0(SALU_CYCLE_1)
	s_add_u32 s4, s24, s4
	s_addc_u32 s5, s25, s5
	s_load_b32 s4, s[4:5], 0x0
	s_waitcnt lgkmcnt(0)
	v_dual_mul_f32 v74, s4, v74 :: v_dual_mul_f32 v75, s4, v75
	v_dual_mul_f32 v76, s4, v76 :: v_dual_mul_f32 v77, s4, v77
.LBB3_88:
	s_and_not1_b32 vcc_lo, exec_lo, s2
	s_cbranch_vccnz .LBB3_90
; %bb.89:
	s_abs_i32 s2, s3
	s_ashr_i32 s3, s3, 31
	v_cvt_f32_u32_e32 v0, s2
	s_sub_i32 s5, 0, s2
	s_xor_b32 s3, s7, s3
	s_delay_alu instid0(VALU_DEP_1) | instskip(SKIP_2) | instid1(VALU_DEP_1)
	v_rcp_iflag_f32_e32 v0, v0
	s_waitcnt_depctr 0xfff
	v_mul_f32_e32 v0, 0x4f7ffffe, v0
	v_cvt_u32_f32_e32 v0, v0
	s_delay_alu instid0(VALU_DEP_1) | instskip(NEXT) | instid1(VALU_DEP_1)
	v_readfirstlane_b32 s4, v0
	s_mul_i32 s5, s5, s4
	s_delay_alu instid0(SALU_CYCLE_1) | instskip(NEXT) | instid1(SALU_CYCLE_1)
	s_mul_hi_u32 s5, s4, s5
	s_add_i32 s4, s4, s5
	s_delay_alu instid0(SALU_CYCLE_1) | instskip(NEXT) | instid1(SALU_CYCLE_1)
	s_mul_hi_u32 s4, s8, s4
	s_mul_i32 s5, s4, s2
	s_add_i32 s6, s4, 1
	s_sub_i32 s5, s8, s5
	s_delay_alu instid0(SALU_CYCLE_1)
	s_sub_i32 s7, s5, s2
	s_cmp_ge_u32 s5, s2
	s_cselect_b32 s4, s6, s4
	s_cselect_b32 s5, s7, s5
	s_add_i32 s6, s4, 1
	s_cmp_ge_u32 s5, s2
	s_cselect_b32 s2, s6, s4
	s_delay_alu instid0(SALU_CYCLE_1) | instskip(NEXT) | instid1(SALU_CYCLE_1)
	s_xor_b32 s2, s2, s3
	s_sub_i32 s6, s2, s3
.LBB3_90:
	s_delay_alu instid0(SALU_CYCLE_1)
	s_ashr_i32 s2, s6, 31
	s_mul_hi_u32 s3, s0, s6
	s_mul_i32 s2, s0, s2
	s_mul_i32 s1, s1, s6
	s_add_i32 s2, s3, s2
	s_mul_i32 s0, s0, s6
	s_add_i32 s1, s2, s1
	v_cvt_f16_f32_e32 v0, v74
	s_lshl_b64 s[0:1], s[0:1], 1
	v_cvt_f16_f32_e32 v1, v75
	v_add_co_u32 v4, vcc_lo, v6, s0
	v_add_co_ci_u32_e32 v5, vcc_lo, s1, v7, vcc_lo
	v_cvt_f16_f32_e32 v7, v76
	v_cvt_f16_f32_e32 v8, v77
	v_pack_b32_f16 v6, v0, v1
	global_load_b64 v[2:3], v[4:5], off
	s_mov_b32 s0, 0
	v_pack_b32_f16 v7, v7, v8
.LBB3_91:                               ; =>This Inner Loop Header: Depth=1
	s_waitcnt vmcnt(0)
	v_pk_add_f16 v0, v6, v2
	s_delay_alu instid0(VALU_DEP_2)
	v_pk_add_f16 v1, v7, v3
	global_atomic_cmpswap_b64 v[0:1], v[4:5], v[0:3], off glc
	s_waitcnt vmcnt(0)
	v_cmp_eq_u64_e32 vcc_lo, v[0:1], v[2:3]
	v_dual_mov_b32 v3, v1 :: v_dual_mov_b32 v2, v0
	s_or_b32 s0, vcc_lo, s0
	s_delay_alu instid0(SALU_CYCLE_1)
	s_and_not1_b32 exec_lo, exec_lo, s0
	s_cbranch_execnz .LBB3_91
.LBB3_92:
	s_endpgm
	.section	.rodata,"a",@progbits
	.p2align	6, 0x0
	.amdhsa_kernel _ZN4vllm14moe_gptq_rdna324moe_gemm_q4_kernel_rdna3I6__halfLi8EEEvPKT_PS3_PKjS5_S8_PKfPKiSC_SC_iiiiiiiibi
		.amdhsa_group_segment_fixed_size 4224
		.amdhsa_private_segment_fixed_size 0
		.amdhsa_kernarg_size 112
		.amdhsa_user_sgpr_count 13
		.amdhsa_user_sgpr_dispatch_ptr 0
		.amdhsa_user_sgpr_queue_ptr 0
		.amdhsa_user_sgpr_kernarg_segment_ptr 1
		.amdhsa_user_sgpr_dispatch_id 0
		.amdhsa_user_sgpr_private_segment_size 0
		.amdhsa_wavefront_size32 1
		.amdhsa_uses_dynamic_stack 0
		.amdhsa_enable_private_segment 0
		.amdhsa_system_sgpr_workgroup_id_x 1
		.amdhsa_system_sgpr_workgroup_id_y 1
		.amdhsa_system_sgpr_workgroup_id_z 1
		.amdhsa_system_sgpr_workgroup_info 0
		.amdhsa_system_vgpr_workitem_id 0
		.amdhsa_next_free_vgpr 126
		.amdhsa_next_free_sgpr 41
		.amdhsa_reserve_vcc 1
		.amdhsa_float_round_mode_32 0
		.amdhsa_float_round_mode_16_64 0
		.amdhsa_float_denorm_mode_32 3
		.amdhsa_float_denorm_mode_16_64 3
		.amdhsa_dx10_clamp 1
		.amdhsa_ieee_mode 1
		.amdhsa_fp16_overflow 0
		.amdhsa_workgroup_processor_mode 1
		.amdhsa_memory_ordered 1
		.amdhsa_forward_progress 0
		.amdhsa_shared_vgpr_count 0
		.amdhsa_exception_fp_ieee_invalid_op 0
		.amdhsa_exception_fp_denorm_src 0
		.amdhsa_exception_fp_ieee_div_zero 0
		.amdhsa_exception_fp_ieee_overflow 0
		.amdhsa_exception_fp_ieee_underflow 0
		.amdhsa_exception_fp_ieee_inexact 0
		.amdhsa_exception_int_div_zero 0
	.end_amdhsa_kernel
	.section	.text._ZN4vllm14moe_gptq_rdna324moe_gemm_q4_kernel_rdna3I6__halfLi8EEEvPKT_PS3_PKjS5_S8_PKfPKiSC_SC_iiiiiiiibi,"axG",@progbits,_ZN4vllm14moe_gptq_rdna324moe_gemm_q4_kernel_rdna3I6__halfLi8EEEvPKT_PS3_PKjS5_S8_PKfPKiSC_SC_iiiiiiiibi,comdat
.Lfunc_end3:
	.size	_ZN4vllm14moe_gptq_rdna324moe_gemm_q4_kernel_rdna3I6__halfLi8EEEvPKT_PS3_PKjS5_S8_PKfPKiSC_SC_iiiiiiiibi, .Lfunc_end3-_ZN4vllm14moe_gptq_rdna324moe_gemm_q4_kernel_rdna3I6__halfLi8EEEvPKT_PS3_PKjS5_S8_PKfPKiSC_SC_iiiiiiiibi
                                        ; -- End function
	.section	.AMDGPU.csdata,"",@progbits
; Kernel info:
; codeLenInByte = 13212
; NumSgprs: 43
; NumVgprs: 126
; ScratchSize: 0
; MemoryBound: 0
; FloatMode: 240
; IeeeMode: 1
; LDSByteSize: 4224 bytes/workgroup (compile time only)
; SGPRBlocks: 5
; VGPRBlocks: 15
; NumSGPRsForWavesPerEU: 43
; NumVGPRsForWavesPerEU: 126
; Occupancy: 10
; WaveLimiterHint : 1
; COMPUTE_PGM_RSRC2:SCRATCH_EN: 0
; COMPUTE_PGM_RSRC2:USER_SGPR: 13
; COMPUTE_PGM_RSRC2:TRAP_HANDLER: 0
; COMPUTE_PGM_RSRC2:TGID_X_EN: 1
; COMPUTE_PGM_RSRC2:TGID_Y_EN: 1
; COMPUTE_PGM_RSRC2:TGID_Z_EN: 1
; COMPUTE_PGM_RSRC2:TIDIG_COMP_CNT: 0
	.section	.text._ZN4vllm14moe_gptq_rdna324moe_gemm_q4_kernel_rdna3I14__hip_bfloat16Li1EEEvPKT_PS3_PKjS5_S8_PKfPKiSC_SC_iiiiiiiibi,"axG",@progbits,_ZN4vllm14moe_gptq_rdna324moe_gemm_q4_kernel_rdna3I14__hip_bfloat16Li1EEEvPKT_PS3_PKjS5_S8_PKfPKiSC_SC_iiiiiiiibi,comdat
	.protected	_ZN4vllm14moe_gptq_rdna324moe_gemm_q4_kernel_rdna3I14__hip_bfloat16Li1EEEvPKT_PS3_PKjS5_S8_PKfPKiSC_SC_iiiiiiiibi ; -- Begin function _ZN4vllm14moe_gptq_rdna324moe_gemm_q4_kernel_rdna3I14__hip_bfloat16Li1EEEvPKT_PS3_PKjS5_S8_PKfPKiSC_SC_iiiiiiiibi
	.globl	_ZN4vllm14moe_gptq_rdna324moe_gemm_q4_kernel_rdna3I14__hip_bfloat16Li1EEEvPKT_PS3_PKjS5_S8_PKfPKiSC_SC_iiiiiiiibi
	.p2align	8
	.type	_ZN4vllm14moe_gptq_rdna324moe_gemm_q4_kernel_rdna3I14__hip_bfloat16Li1EEEvPKT_PS3_PKjS5_S8_PKfPKiSC_SC_iiiiiiiibi,@function
_ZN4vllm14moe_gptq_rdna324moe_gemm_q4_kernel_rdna3I14__hip_bfloat16Li1EEEvPKT_PS3_PKjS5_S8_PKfPKiSC_SC_iiiiiiiibi: ; @_ZN4vllm14moe_gptq_rdna324moe_gemm_q4_kernel_rdna3I14__hip_bfloat16Li1EEEvPKT_PS3_PKjS5_S8_PKfPKiSC_SC_iiiiiiiibi
; %bb.0:
	s_load_b64 s[6:7], s[2:3], 0x40
	s_waitcnt lgkmcnt(0)
	s_load_b32 s5, s[6:7], 0x0
	s_waitcnt lgkmcnt(0)
	s_cmp_ge_i32 s13, s5
	s_cbranch_scc1 .LBB4_64
; %bb.1:
	s_load_b64 s[6:7], s[2:3], 0x38
	s_mov_b32 s4, s13
	s_ashr_i32 s5, s13, 31
	v_and_b32_e32 v5, 0x3ff, v0
	s_lshl_b64 s[24:25], s[4:5], 2
	s_mov_b32 s18, -1
	s_delay_alu instid0(VALU_DEP_1) | instskip(NEXT) | instid1(VALU_DEP_1)
	v_lshlrev_b32_e32 v1, 2, v5
	v_lshl_add_u32 v2, s14, 10, v1
	s_waitcnt lgkmcnt(0)
	s_add_u32 s12, s6, s24
	s_addc_u32 s13, s7, s25
	s_load_b256 s[4:11], s[2:3], 0x48
	s_load_b32 s27, s[12:13], 0x0
	s_waitcnt lgkmcnt(0)
	v_cmp_gt_i32_e32 vcc_lo, s5, v2
	s_cmp_lg_u32 s27, -1
	s_cselect_b32 s12, -1, 0
	s_delay_alu instid0(SALU_CYCLE_1) | instskip(NEXT) | instid1(SALU_CYCLE_1)
	s_and_b32 s12, s12, vcc_lo
	s_and_saveexec_b32 s13, s12
	s_cbranch_execz .LBB4_64
; %bb.2:
	s_load_b64 s[12:13], s[0:1], 0x4
	s_abs_i32 s16, s7
	v_bfe_u32 v3, v0, 10, 10
	v_cvt_f32_u32_e32 v1, s16
	v_bfe_u32 v0, v0, 20, 10
	s_sub_i32 s1, 0, s16
	s_abs_i32 s17, s6
	s_lshl_b32 s14, s15, 8
	v_rcp_iflag_f32_e32 v1, v1
	s_waitcnt lgkmcnt(0)
	s_lshr_b32 s12, s12, 16
	v_mul_u32_u24_e32 v3, s13, v3
	s_mul_i32 s12, s12, s13
	s_delay_alu instid0(SALU_CYCLE_1) | instskip(NEXT) | instid1(VALU_DEP_1)
	v_mul_lo_u32 v4, s12, v5
	v_add3_u32 v6, v4, v3, v0
	v_mov_b32_e32 v7, 0
	v_ashrrev_i32_e32 v3, 31, v2
	s_waitcnt_depctr 0xfff
	v_dual_mul_f32 v1, 0x4f7ffffe, v1 :: v_dual_lshlrev_b32 v4, 4, v6
	v_mov_b32_e32 v8, v7
	v_mov_b32_e32 v9, v7
	;; [unrolled: 1-line block ×3, first 2 shown]
	s_delay_alu instid0(VALU_DEP_4) | instskip(NEXT) | instid1(VALU_DEP_1)
	v_cvt_u32_f32_e32 v1, v1
	v_readfirstlane_b32 s0, v1
	s_delay_alu instid0(VALU_DEP_1) | instskip(NEXT) | instid1(SALU_CYCLE_1)
	s_mul_i32 s1, s1, s0
	s_mul_hi_u32 s1, s0, s1
	s_delay_alu instid0(SALU_CYCLE_1) | instskip(SKIP_4) | instid1(SALU_CYCLE_1)
	s_add_i32 s0, s0, s1
	s_xor_b32 s1, s6, s7
	s_mul_hi_u32 s0, s17, s0
	s_ashr_i32 s1, s1, 31
	s_mul_i32 s7, s0, s16
	s_sub_i32 s7, s17, s7
	s_add_i32 s17, s0, 1
	s_sub_i32 s19, s7, s16
	s_cmp_ge_u32 s7, s16
	s_cselect_b32 s0, s17, s0
	s_cselect_b32 s7, s19, s7
	s_add_i32 s17, s0, 1
	s_cmp_ge_u32 s7, s16
                                        ; implicit-def: $sgpr16
	s_cselect_b32 s0, s17, s0
                                        ; implicit-def: $sgpr17
	s_delay_alu instid0(SALU_CYCLE_1) | instskip(NEXT) | instid1(SALU_CYCLE_1)
	s_xor_b32 s0, s0, s1
	s_sub_i32 s26, s0, s1
	s_clause 0x1
	s_load_b64 s[0:1], s[2:3], 0x30
	s_load_b64 s[20:21], s[2:3], 0x68
	s_abs_i32 s7, s26
	s_cmp_lt_i32 s14, s6
	v_cvt_f32_u32_e32 v1, s7
	ds_store_b128 v4, v[7:10]
	v_rcp_iflag_f32_e32 v1, v1
	s_waitcnt_depctr 0xfff
	v_mul_f32_e32 v1, 0x4f7ffffe, v1
	s_delay_alu instid0(VALU_DEP_1) | instskip(NEXT) | instid1(VALU_DEP_1)
	v_cvt_u32_f32_e32 v0, v1
	v_readfirstlane_b32 s28, v0
	s_cbranch_scc1 .LBB4_4
; %bb.3:
	s_waitcnt lgkmcnt(0)
	s_add_u32 s12, s0, s24
	s_addc_u32 s13, s1, s25
	s_abs_i32 s17, s8
	s_load_b32 s16, s[12:13], 0x0
	v_cvt_f32_u32_e32 v0, s17
	s_sub_i32 s13, 0, s17
	s_delay_alu instid0(VALU_DEP_1) | instskip(SKIP_4) | instid1(VALU_DEP_1)
	v_rcp_iflag_f32_e32 v0, v0
	s_waitcnt_depctr 0xfff
	v_mul_f32_e32 v0, 0x4f7ffffe, v0
	s_waitcnt lgkmcnt(0)
	s_abs_i32 s18, s16
	v_cvt_u32_f32_e32 v0, v0
	s_delay_alu instid0(VALU_DEP_1) | instskip(NEXT) | instid1(VALU_DEP_1)
	v_readfirstlane_b32 s12, v0
	s_mul_i32 s13, s13, s12
	s_delay_alu instid0(SALU_CYCLE_1) | instskip(NEXT) | instid1(SALU_CYCLE_1)
	s_mul_hi_u32 s13, s12, s13
	s_add_i32 s12, s12, s13
	s_xor_b32 s13, s16, s8
	s_mul_hi_u32 s12, s18, s12
	s_ashr_i32 s13, s13, 31
	s_mul_i32 s19, s12, s17
	s_delay_alu instid0(SALU_CYCLE_1)
	s_sub_i32 s18, s18, s19
	s_add_i32 s19, s12, 1
	s_sub_i32 s22, s18, s17
	s_cmp_ge_u32 s18, s17
	s_cselect_b32 s12, s19, s12
	s_cselect_b32 s18, s22, s18
	s_add_i32 s19, s12, 1
	s_cmp_ge_u32 s18, s17
	s_mov_b32 s18, 0
	s_cselect_b32 s12, s19, s12
	s_delay_alu instid0(SALU_CYCLE_1) | instskip(NEXT) | instid1(SALU_CYCLE_1)
	s_xor_b32 s12, s12, s13
	s_sub_i32 s17, s12, s13
.LBB4_4:
	s_clause 0x1
	s_load_b64 s[12:13], s[2:3], 0x8
	s_load_b64 s[22:23], s[2:3], 0x28
	v_lshlrev_b64 v[0:1], 1, v[2:3]
	s_and_not1_b32 vcc_lo, exec_lo, s18
	s_cbranch_vccnz .LBB4_25
; %bb.5:
	s_clause 0x1
	s_load_b64 s[30:31], s[2:3], 0x20
	s_load_b128 s[16:19], s[2:3], 0x10
	s_sub_i32 s29, 0, s7
	s_mul_hi_i32 s35, s27, s11
	s_mul_i32 s29, s29, s28
	s_mul_i32 s34, s27, s11
	s_mul_hi_u32 s29, s28, s29
	s_abs_i32 s33, s14
	s_lshl_b64 s[34:35], s[34:35], 2
	s_add_i32 s28, s28, s29
	s_bfe_i32 s15, s15, 0x10017
	s_ashr_i32 s36, s26, 31
	s_mul_hi_i32 s11, s27, s10
	s_mul_i32 s10, s27, s10
	s_mul_hi_u32 s28, s33, s28
	v_lshrrev_b32_e32 v7, 29, v3
	s_mul_i32 s29, s28, s7
	v_lshlrev_b32_e32 v12, 4, v5
	v_lshl_add_u32 v5, v6, 4, 0x4000
	s_load_b64 s[2:3], s[2:3], 0x0
	s_waitcnt lgkmcnt(0)
	s_add_u32 s34, s30, s34
	s_addc_u32 s35, s31, s35
	s_lshl_b64 s[10:11], s[10:11], 1
	v_add_nc_u32_e32 v7, v2, v7
	s_add_u32 s37, s18, s10
	s_addc_u32 s38, s19, s11
	s_sub_i32 s11, s33, s29
	s_xor_b32 s10, s15, s36
	s_add_i32 s15, s28, 1
	s_sub_i32 s18, s11, s7
	s_cmp_ge_u32 s11, s7
	v_ashrrev_i32_e32 v7, 3, v7
	s_cselect_b32 s15, s15, s28
	s_cselect_b32 s11, s18, s11
	s_add_i32 s18, s15, 1
	s_cmp_ge_u32 s11, s7
	v_ashrrev_i32_e32 v8, 31, v7
	s_cselect_b32 s7, s18, s15
	s_ashr_i32 s11, s5, 31
	s_xor_b32 s7, s7, s10
	s_lshr_b32 s15, s11, 29
	s_sub_i32 s18, s7, s10
	s_add_i32 s15, s5, s15
	v_lshlrev_b64 v[7:8], 2, v[7:8]
	s_ashr_i32 s19, s15, 3
	s_mul_i32 s30, s18, s5
	s_mul_i32 s28, s18, s19
	v_lshlrev_b64 v[2:3], 2, v[2:3]
	s_ashr_i32 s29, s28, 31
	s_mov_b32 s36, s14
	s_lshl_b64 s[28:29], s[28:29], 2
	v_and_b32_e32 v6, 16, v12
	s_add_u32 s7, s34, s28
	s_addc_u32 s10, s35, s29
	v_add_co_u32 v9, vcc_lo, s7, v7
	v_add_co_ci_u32_e32 v10, vcc_lo, s10, v8, vcc_lo
	s_ashr_i32 s31, s30, 31
	s_delay_alu instid0(SALU_CYCLE_1)
	s_lshl_b64 s[28:29], s[30:31], 1
	global_load_b32 v11, v[9:10], off
	s_add_u32 s7, s37, s28
	s_addc_u32 s10, s38, s29
	v_add_co_u32 v9, vcc_lo, s7, v0
	v_add_co_ci_u32_e32 v10, vcc_lo, s10, v1, vcc_lo
	s_mul_hi_i32 s29, s27, s9
	s_mul_i32 s28, s27, s9
	s_add_i32 s7, s14, 0x100
	global_load_b64 v[13:14], v[9:10], off
	s_lshl_b64 s[28:29], s[28:29], 2
	s_min_i32 s27, s7, s6
	s_add_u32 s7, s16, s28
	s_addc_u32 s9, s17, s29
	s_ashr_i32 s10, s14, 3
	v_add_co_u32 v7, vcc_lo, s34, v7
	s_mul_i32 s16, s10, s5
	v_add_co_ci_u32_e32 v8, vcc_lo, s35, v8, vcc_lo
	s_ashr_i32 s17, s16, 31
	s_mov_b32 s35, 0xf000f
	s_lshl_b64 s[16:17], s[16:17], 2
	s_delay_alu instid0(SALU_CYCLE_1)
	s_add_u32 s28, s7, s16
	s_addc_u32 s9, s9, s17
	s_add_i32 s29, s18, 1
	s_add_u32 s0, s0, s24
	s_addc_u32 s1, s1, s25
	s_abs_i32 s7, s8
	s_load_b32 s16, s[0:1], 0x0
	v_cvt_f32_u32_e32 v9, s7
	s_sub_i32 s1, 0, s7
	s_delay_alu instid0(VALU_DEP_1) | instskip(SKIP_4) | instid1(VALU_DEP_1)
	v_rcp_iflag_f32_e32 v9, v9
	s_waitcnt_depctr 0xfff
	v_mul_f32_e32 v9, 0x4f7ffffe, v9
	s_waitcnt lgkmcnt(0)
	s_abs_i32 s10, s16
	v_cvt_u32_f32_e32 v9, v9
	s_delay_alu instid0(VALU_DEP_1) | instskip(SKIP_2) | instid1(VALU_DEP_3)
	v_readfirstlane_b32 s0, v9
	v_add_co_u32 v9, vcc_lo, s37, v0
	v_add_co_ci_u32_e32 v10, vcc_lo, s38, v1, vcc_lo
	s_mul_i32 s1, s1, s0
	v_add_co_u32 v2, vcc_lo, s28, v2
	s_mul_hi_u32 s1, s0, s1
	v_add_co_ci_u32_e32 v3, vcc_lo, s9, v3, vcc_lo
	s_add_i32 s0, s0, s1
	s_xor_b32 s1, s16, s8
	s_mul_hi_u32 s0, s10, s0
	s_ashr_i32 s1, s1, 31
	s_mul_i32 s8, s0, s7
	s_delay_alu instid0(SALU_CYCLE_1)
	s_sub_i32 s8, s10, s8
	s_add_i32 s10, s0, 1
	s_sub_i32 s15, s8, s7
	s_cmp_ge_u32 s8, s7
	s_cselect_b32 s0, s10, s0
	s_cselect_b32 s8, s15, s8
	s_add_i32 s10, s0, 1
	s_cmp_ge_u32 s8, s7
	s_cselect_b32 s0, s10, s0
	s_mov_b32 s10, s5
	s_xor_b32 s0, s0, s1
	s_delay_alu instid0(SALU_CYCLE_1) | instskip(NEXT) | instid1(SALU_CYCLE_1)
	s_sub_i32 s17, s0, s1
	s_cmp_lt_i32 s17, s4
	s_mul_hi_i32 s7, s17, s6
	s_mul_i32 s6, s17, s6
	s_cselect_b32 s1, -1, 0
	s_lshl_b64 s[6:7], s[6:7], 1
	s_delay_alu instid0(SALU_CYCLE_1) | instskip(SKIP_2) | instid1(SALU_CYCLE_1)
	s_add_u32 s0, s2, s6
	s_addc_u32 s6, s3, s7
	s_ashr_i32 s15, s14, 31
	s_lshl_b64 s[2:3], s[14:15], 1
	s_mul_i32 s15, s29, s26
	s_add_u32 s24, s0, s2
	s_addc_u32 s25, s6, s3
	s_lshl_b64 s[2:3], s[10:11], 2
	s_add_u32 s28, s24, 16
	s_addc_u32 s29, s25, 0
	s_add_u32 s30, s24, 32
	s_addc_u32 s31, s25, 0
	;; [unrolled: 2-line block ×3, first 2 shown]
	s_waitcnt vmcnt(1)
	v_lshrrev_b32_e32 v12, v12, v11
	v_bfe_u32 v15, v11, v6, 4
	s_delay_alu instid0(VALU_DEP_2) | instskip(SKIP_2) | instid1(VALU_DEP_4)
	v_bfe_u32 v16, v12, 4, 4
	v_bfe_u32 v17, v12, 8, 4
	v_bfe_u32 v18, v12, 12, 4
	v_add_nc_u32_e32 v15, 0x81, v15
	s_delay_alu instid0(VALU_DEP_4) | instskip(NEXT) | instid1(VALU_DEP_4)
	v_add_nc_u32_e32 v16, 0x81, v16
	v_add_nc_u32_e32 v17, 0x81, v17
	s_delay_alu instid0(VALU_DEP_4)
	v_add_nc_u32_e32 v18, 0x81, v18
	s_waitcnt vmcnt(0)
	v_lshlrev_b32_e32 v11, 16, v13
	v_and_b32_e32 v12, 0xffff0000, v13
	v_lshlrev_b32_e32 v13, 16, v14
	v_and_b32_e32 v14, 0xffff0000, v14
	v_cvt_f32_ubyte0_e32 v15, v15
	v_cvt_f32_ubyte0_e32 v16, v16
	v_cvt_f32_ubyte0_e32 v17, v17
	v_cvt_f32_ubyte0_e32 v18, v18
	s_delay_alu instid0(VALU_DEP_4) | instskip(NEXT) | instid1(VALU_DEP_4)
	v_mul_f32_e64 v15, -v15, v11
	v_mul_f32_e64 v16, -v16, v12
	s_delay_alu instid0(VALU_DEP_4) | instskip(NEXT) | instid1(VALU_DEP_4)
	v_mul_f32_e64 v17, -v17, v13
	v_mul_f32_e64 v18, -v18, v14
.LBB4_6:                                ; =>This Loop Header: Depth=1
                                        ;     Child Loop BB4_11 Depth 2
                                        ;     Child Loop BB4_15 Depth 2
                                        ;     Child Loop BB4_19 Depth 2
                                        ;     Child Loop BB4_23 Depth 2
	s_cmp_lg_u32 s36, s15
	s_cbranch_scc1 .LBB4_8
; %bb.7:                                ;   in Loop: Header=BB4_6 Depth=1
	s_add_i32 s18, s18, 1
	s_add_i32 s15, s15, s26
	s_mul_i32 s6, s18, s19
	s_mul_i32 s8, s18, s5
	s_ashr_i32 s7, s6, 31
	s_ashr_i32 s9, s8, 31
	s_lshl_b64 s[6:7], s[6:7], 2
	s_delay_alu instid0(SALU_CYCLE_1) | instskip(SKIP_2) | instid1(SALU_CYCLE_1)
	v_add_co_u32 v11, vcc_lo, v7, s6
	v_add_co_ci_u32_e32 v12, vcc_lo, s7, v8, vcc_lo
	s_lshl_b64 s[6:7], s[8:9], 1
	v_add_co_u32 v13, vcc_lo, v9, s6
	v_add_co_ci_u32_e32 v14, vcc_lo, s7, v10, vcc_lo
	global_load_b32 v11, v[11:12], off
	global_load_b64 v[13:14], v[13:14], off
	s_waitcnt vmcnt(1)
	v_lshrrev_b32_e32 v15, v6, v11
	v_bfe_u32 v16, v11, v6, 4
	s_waitcnt vmcnt(0)
	v_lshlrev_b32_e32 v11, 16, v13
	v_and_b32_e32 v12, 0xffff0000, v13
	v_lshlrev_b32_e32 v13, 16, v14
	v_bfe_u32 v17, v15, 4, 4
	v_bfe_u32 v18, v15, 8, 4
	;; [unrolled: 1-line block ×3, first 2 shown]
	v_add_nc_u32_e32 v16, 0x81, v16
	v_and_b32_e32 v14, 0xffff0000, v14
	v_add_nc_u32_e32 v17, 0x81, v17
	v_add_nc_u32_e32 v18, 0x81, v18
	;; [unrolled: 1-line block ×3, first 2 shown]
	v_cvt_f32_ubyte0_e32 v16, v16
	s_delay_alu instid0(VALU_DEP_4) | instskip(NEXT) | instid1(VALU_DEP_4)
	v_cvt_f32_ubyte0_e32 v17, v17
	v_cvt_f32_ubyte0_e32 v18, v18
	s_delay_alu instid0(VALU_DEP_4) | instskip(NEXT) | instid1(VALU_DEP_4)
	v_cvt_f32_ubyte0_e32 v19, v15
	v_mul_f32_e64 v15, -v16, v11
	s_delay_alu instid0(VALU_DEP_4) | instskip(NEXT) | instid1(VALU_DEP_4)
	v_mul_f32_e64 v16, -v17, v12
	v_mul_f32_e64 v17, -v18, v13
	s_delay_alu instid0(VALU_DEP_4)
	v_mul_f32_e64 v18, -v19, v14
.LBB4_8:                                ;   in Loop: Header=BB4_6 Depth=1
	global_load_b128 v[19:22], v[2:3], off
	s_sub_i32 s6, s36, s14
	s_mov_b32 s37, 0
	s_and_not1_b32 vcc_lo, exec_lo, s1
	s_mov_b32 s11, 0
	s_mov_b32 s10, 0
	s_mov_b32 s9, 0
	s_mov_b32 s8, 0
	s_waitcnt vmcnt(0)
	ds_store_b128 v5, v[19:22]
	s_cbranch_vccnz .LBB4_10
; %bb.9:                                ;   in Loop: Header=BB4_6 Depth=1
	s_ashr_i32 s7, s6, 31
	s_delay_alu instid0(SALU_CYCLE_1) | instskip(NEXT) | instid1(SALU_CYCLE_1)
	s_lshl_b64 s[8:9], s[6:7], 1
	s_add_u32 s8, s24, s8
	s_addc_u32 s9, s25, s9
	s_load_b128 s[8:11], s[8:9], 0x0
.LBB4_10:                               ;   in Loop: Header=BB4_6 Depth=1
	s_waitcnt lgkmcnt(0)
	v_dot2_f32_bf16 v19, s8, 0x3f803f80, 0
	v_mov_b32_e32 v21, v5
	s_delay_alu instid0(VALU_DEP_2) | instskip(NEXT) | instid1(VALU_DEP_1)
	v_dot2_f32_bf16 v19, s9, 0x3f803f80, v19
	v_dot2_f32_bf16 v20, s10, 0x3f803f80, v19
	v_mov_b32_e32 v19, v4
	s_delay_alu instid0(VALU_DEP_2)
	v_dot2_f32_bf16 v20, s11, 0x3f803f80, v20
.LBB4_11:                               ;   Parent Loop BB4_6 Depth=1
                                        ; =>  This Inner Loop Header: Depth=2
	ds_load_b32 v22, v21
	ds_load_b32 v23, v19
	s_cmp_eq_u32 s37, 1
	v_add_nc_u32_e32 v21, 4, v21
	s_cselect_b32 vcc_lo, -1, 0
	s_cmp_eq_u32 s37, 2
	v_cndmask_b32_e32 v25, v15, v16, vcc_lo
	s_cselect_b32 s0, -1, 0
	s_cmp_eq_u32 s37, 3
	s_delay_alu instid0(VALU_DEP_1) | instskip(SKIP_3) | instid1(VALU_DEP_2)
	v_cndmask_b32_e64 v25, v25, v17, s0
	v_cndmask_b32_e32 v24, v11, v12, vcc_lo
	s_cselect_b32 vcc_lo, -1, 0
	s_add_i32 s37, s37, 1
	v_cndmask_b32_e32 v25, v25, v18, vcc_lo
	s_delay_alu instid0(VALU_DEP_2)
	v_cndmask_b32_e64 v24, v24, v13, s0
	s_cmp_eq_u32 s37, 4
	s_waitcnt lgkmcnt(1)
	v_lshrrev_b32_e32 v26, 4, v22
	v_and_or_b32 v27, v22, s35, 0x43004300
	v_lshrrev_b32_e32 v28, 8, v22
	v_lshrrev_b32_e32 v22, 12, v22
	v_cndmask_b32_e32 v24, v24, v14, vcc_lo
	v_and_or_b32 v26, v26, s35, 0x43004300
	v_dot2_f32_bf16 v27, s8, v27, 0
	v_and_or_b32 v28, v28, s35, 0x43004300
	v_and_or_b32 v22, v22, s35, 0x43004300
	s_waitcnt lgkmcnt(0)
	v_fmac_f32_e32 v23, v25, v20
	v_dot2_f32_bf16 v26, s9, v26, v27
	s_delay_alu instid0(VALU_DEP_1) | instskip(NEXT) | instid1(VALU_DEP_1)
	v_dot2_f32_bf16 v26, s10, v28, v26
	v_dot2_f32_bf16 v22, s11, v22, v26
	s_delay_alu instid0(VALU_DEP_1)
	v_fmac_f32_e32 v23, v24, v22
	ds_store_b32 v19, v23
	v_add_nc_u32_e32 v19, 4, v19
	s_cbranch_scc0 .LBB4_11
; %bb.12:                               ;   in Loop: Header=BB4_6 Depth=1
	v_add_co_u32 v2, vcc_lo, v2, s2
	v_add_co_ci_u32_e32 v3, vcc_lo, s3, v3, vcc_lo
	s_mov_b32 s37, 0
	s_and_not1_b32 vcc_lo, exec_lo, s1
	s_mov_b32 s11, 0
	global_load_b128 v[19:22], v[2:3], off
	s_mov_b32 s10, 0
	s_mov_b32 s9, 0
	;; [unrolled: 1-line block ×3, first 2 shown]
	s_waitcnt vmcnt(0)
	ds_store_b128 v5, v[19:22]
	s_cbranch_vccnz .LBB4_14
; %bb.13:                               ;   in Loop: Header=BB4_6 Depth=1
	s_ashr_i32 s7, s6, 31
	s_delay_alu instid0(SALU_CYCLE_1) | instskip(NEXT) | instid1(SALU_CYCLE_1)
	s_lshl_b64 s[8:9], s[6:7], 1
	s_add_u32 s8, s28, s8
	s_addc_u32 s9, s29, s9
	s_load_b128 s[8:11], s[8:9], 0x0
.LBB4_14:                               ;   in Loop: Header=BB4_6 Depth=1
	s_waitcnt lgkmcnt(0)
	v_dot2_f32_bf16 v19, s8, 0x3f803f80, 0
	v_mov_b32_e32 v21, v4
	s_delay_alu instid0(VALU_DEP_2) | instskip(NEXT) | instid1(VALU_DEP_1)
	v_dot2_f32_bf16 v19, s9, 0x3f803f80, v19
	v_dot2_f32_bf16 v20, s10, 0x3f803f80, v19
	v_mov_b32_e32 v19, v5
	s_delay_alu instid0(VALU_DEP_2)
	v_dot2_f32_bf16 v20, s11, 0x3f803f80, v20
.LBB4_15:                               ;   Parent Loop BB4_6 Depth=1
                                        ; =>  This Inner Loop Header: Depth=2
	ds_load_b32 v22, v19
	ds_load_b32 v23, v21
	s_cmp_eq_u32 s37, 1
	v_add_nc_u32_e32 v19, 4, v19
	s_cselect_b32 vcc_lo, -1, 0
	s_cmp_eq_u32 s37, 2
	v_cndmask_b32_e32 v25, v15, v16, vcc_lo
	s_cselect_b32 s0, -1, 0
	s_cmp_eq_u32 s37, 3
	s_delay_alu instid0(VALU_DEP_1) | instskip(SKIP_3) | instid1(VALU_DEP_2)
	v_cndmask_b32_e64 v25, v25, v17, s0
	v_cndmask_b32_e32 v24, v11, v12, vcc_lo
	s_cselect_b32 vcc_lo, -1, 0
	s_add_i32 s37, s37, 1
	v_cndmask_b32_e32 v25, v25, v18, vcc_lo
	s_delay_alu instid0(VALU_DEP_2)
	v_cndmask_b32_e64 v24, v24, v13, s0
	s_cmp_lg_u32 s37, 4
	s_waitcnt lgkmcnt(1)
	v_lshrrev_b32_e32 v26, 4, v22
	v_and_or_b32 v27, v22, s35, 0x43004300
	v_lshrrev_b32_e32 v28, 8, v22
	v_lshrrev_b32_e32 v22, 12, v22
	v_cndmask_b32_e32 v24, v24, v14, vcc_lo
	v_and_or_b32 v26, v26, s35, 0x43004300
	v_dot2_f32_bf16 v27, s8, v27, 0
	v_and_or_b32 v28, v28, s35, 0x43004300
	v_and_or_b32 v22, v22, s35, 0x43004300
	s_waitcnt lgkmcnt(0)
	v_fmac_f32_e32 v23, v25, v20
	v_dot2_f32_bf16 v26, s9, v26, v27
	s_delay_alu instid0(VALU_DEP_1) | instskip(NEXT) | instid1(VALU_DEP_1)
	v_dot2_f32_bf16 v26, s10, v28, v26
	v_dot2_f32_bf16 v22, s11, v22, v26
	s_delay_alu instid0(VALU_DEP_1)
	v_fmac_f32_e32 v23, v24, v22
	ds_store_b32 v21, v23
	v_add_nc_u32_e32 v21, 4, v21
	s_cbranch_scc1 .LBB4_15
; %bb.16:                               ;   in Loop: Header=BB4_6 Depth=1
	v_add_co_u32 v2, vcc_lo, v2, s2
	v_add_co_ci_u32_e32 v3, vcc_lo, s3, v3, vcc_lo
	s_mov_b32 s37, 0
	s_and_not1_b32 vcc_lo, exec_lo, s1
	s_mov_b32 s11, 0
	global_load_b128 v[19:22], v[2:3], off
	s_mov_b32 s10, 0
	s_mov_b32 s9, 0
	;; [unrolled: 1-line block ×3, first 2 shown]
	s_waitcnt vmcnt(0)
	ds_store_b128 v5, v[19:22]
	s_cbranch_vccnz .LBB4_18
; %bb.17:                               ;   in Loop: Header=BB4_6 Depth=1
	s_ashr_i32 s7, s6, 31
	s_delay_alu instid0(SALU_CYCLE_1) | instskip(NEXT) | instid1(SALU_CYCLE_1)
	s_lshl_b64 s[8:9], s[6:7], 1
	s_add_u32 s8, s30, s8
	s_addc_u32 s9, s31, s9
	s_load_b128 s[8:11], s[8:9], 0x0
.LBB4_18:                               ;   in Loop: Header=BB4_6 Depth=1
	s_waitcnt lgkmcnt(0)
	v_dot2_f32_bf16 v19, s8, 0x3f803f80, 0
	v_mov_b32_e32 v21, v4
	s_delay_alu instid0(VALU_DEP_2) | instskip(NEXT) | instid1(VALU_DEP_1)
	v_dot2_f32_bf16 v19, s9, 0x3f803f80, v19
	v_dot2_f32_bf16 v20, s10, 0x3f803f80, v19
	v_mov_b32_e32 v19, v5
	s_delay_alu instid0(VALU_DEP_2)
	v_dot2_f32_bf16 v20, s11, 0x3f803f80, v20
.LBB4_19:                               ;   Parent Loop BB4_6 Depth=1
                                        ; =>  This Inner Loop Header: Depth=2
	ds_load_b32 v22, v19
	ds_load_b32 v23, v21
	s_cmp_eq_u32 s37, 1
	v_add_nc_u32_e32 v19, 4, v19
	s_cselect_b32 vcc_lo, -1, 0
	s_cmp_eq_u32 s37, 2
	v_cndmask_b32_e32 v25, v15, v16, vcc_lo
	s_cselect_b32 s0, -1, 0
	s_cmp_eq_u32 s37, 3
	s_delay_alu instid0(VALU_DEP_1) | instskip(SKIP_3) | instid1(VALU_DEP_2)
	v_cndmask_b32_e64 v25, v25, v17, s0
	v_cndmask_b32_e32 v24, v11, v12, vcc_lo
	s_cselect_b32 vcc_lo, -1, 0
	s_add_i32 s37, s37, 1
	v_cndmask_b32_e32 v25, v25, v18, vcc_lo
	s_delay_alu instid0(VALU_DEP_2)
	v_cndmask_b32_e64 v24, v24, v13, s0
	s_cmp_lg_u32 s37, 4
	s_waitcnt lgkmcnt(1)
	v_lshrrev_b32_e32 v26, 4, v22
	v_and_or_b32 v27, v22, s35, 0x43004300
	v_lshrrev_b32_e32 v28, 8, v22
	v_lshrrev_b32_e32 v22, 12, v22
	v_cndmask_b32_e32 v24, v24, v14, vcc_lo
	v_and_or_b32 v26, v26, s35, 0x43004300
	v_dot2_f32_bf16 v27, s8, v27, 0
	v_and_or_b32 v28, v28, s35, 0x43004300
	v_and_or_b32 v22, v22, s35, 0x43004300
	s_waitcnt lgkmcnt(0)
	v_fmac_f32_e32 v23, v25, v20
	v_dot2_f32_bf16 v26, s9, v26, v27
	s_delay_alu instid0(VALU_DEP_1) | instskip(NEXT) | instid1(VALU_DEP_1)
	v_dot2_f32_bf16 v26, s10, v28, v26
	v_dot2_f32_bf16 v22, s11, v22, v26
	s_delay_alu instid0(VALU_DEP_1)
	v_fmac_f32_e32 v23, v24, v22
	ds_store_b32 v21, v23
	v_add_nc_u32_e32 v21, 4, v21
	s_cbranch_scc1 .LBB4_19
; %bb.20:                               ;   in Loop: Header=BB4_6 Depth=1
	v_add_co_u32 v2, vcc_lo, v2, s2
	v_add_co_ci_u32_e32 v3, vcc_lo, s3, v3, vcc_lo
	s_mov_b32 s37, 0
	s_and_not1_b32 vcc_lo, exec_lo, s1
	s_mov_b32 s11, 0
	global_load_b128 v[19:22], v[2:3], off
	s_mov_b32 s10, 0
	s_mov_b32 s9, 0
	;; [unrolled: 1-line block ×3, first 2 shown]
	s_waitcnt vmcnt(0)
	ds_store_b128 v5, v[19:22]
	s_cbranch_vccnz .LBB4_22
; %bb.21:                               ;   in Loop: Header=BB4_6 Depth=1
	s_ashr_i32 s7, s6, 31
	s_delay_alu instid0(SALU_CYCLE_1) | instskip(NEXT) | instid1(SALU_CYCLE_1)
	s_lshl_b64 s[6:7], s[6:7], 1
	s_add_u32 s6, s33, s6
	s_addc_u32 s7, s34, s7
	s_load_b128 s[8:11], s[6:7], 0x0
.LBB4_22:                               ;   in Loop: Header=BB4_6 Depth=1
	s_waitcnt lgkmcnt(0)
	v_dot2_f32_bf16 v19, s8, 0x3f803f80, 0
	v_mov_b32_e32 v21, v4
	s_delay_alu instid0(VALU_DEP_2) | instskip(NEXT) | instid1(VALU_DEP_1)
	v_dot2_f32_bf16 v19, s9, 0x3f803f80, v19
	v_dot2_f32_bf16 v20, s10, 0x3f803f80, v19
	v_mov_b32_e32 v19, v5
	s_delay_alu instid0(VALU_DEP_2)
	v_dot2_f32_bf16 v20, s11, 0x3f803f80, v20
.LBB4_23:                               ;   Parent Loop BB4_6 Depth=1
                                        ; =>  This Inner Loop Header: Depth=2
	ds_load_b32 v22, v19
	ds_load_b32 v23, v21
	s_cmp_eq_u32 s37, 1
	v_add_nc_u32_e32 v19, 4, v19
	s_cselect_b32 vcc_lo, -1, 0
	s_cmp_eq_u32 s37, 2
	v_cndmask_b32_e32 v25, v15, v16, vcc_lo
	s_cselect_b32 s0, -1, 0
	s_cmp_eq_u32 s37, 3
	s_delay_alu instid0(VALU_DEP_1) | instskip(SKIP_3) | instid1(VALU_DEP_2)
	v_cndmask_b32_e64 v25, v25, v17, s0
	v_cndmask_b32_e32 v24, v11, v12, vcc_lo
	s_cselect_b32 vcc_lo, -1, 0
	s_add_i32 s37, s37, 1
	v_cndmask_b32_e32 v25, v25, v18, vcc_lo
	s_delay_alu instid0(VALU_DEP_2)
	v_cndmask_b32_e64 v24, v24, v13, s0
	s_cmp_lg_u32 s37, 4
	s_waitcnt lgkmcnt(1)
	v_lshrrev_b32_e32 v26, 4, v22
	v_and_or_b32 v27, v22, s35, 0x43004300
	v_lshrrev_b32_e32 v28, 8, v22
	v_lshrrev_b32_e32 v22, 12, v22
	v_cndmask_b32_e32 v24, v24, v14, vcc_lo
	v_and_or_b32 v26, v26, s35, 0x43004300
	v_dot2_f32_bf16 v27, s8, v27, 0
	v_and_or_b32 v28, v28, s35, 0x43004300
	v_and_or_b32 v22, v22, s35, 0x43004300
	s_waitcnt lgkmcnt(0)
	v_fmac_f32_e32 v23, v25, v20
	v_dot2_f32_bf16 v26, s9, v26, v27
	s_delay_alu instid0(VALU_DEP_1) | instskip(NEXT) | instid1(VALU_DEP_1)
	v_dot2_f32_bf16 v26, s10, v28, v26
	v_dot2_f32_bf16 v22, s11, v22, v26
	s_delay_alu instid0(VALU_DEP_1)
	v_fmac_f32_e32 v23, v24, v22
	ds_store_b32 v21, v23
	v_add_nc_u32_e32 v21, 4, v21
	s_cbranch_scc1 .LBB4_23
; %bb.24:                               ;   in Loop: Header=BB4_6 Depth=1
	v_add_co_u32 v2, vcc_lo, v2, s2
	v_add_co_ci_u32_e32 v3, vcc_lo, s3, v3, vcc_lo
	s_add_i32 s36, s36, 32
	s_delay_alu instid0(SALU_CYCLE_1)
	s_cmp_ge_i32 s36, s27
	s_cbranch_scc0 .LBB4_6
.LBB4_25:
	s_cmp_ge_i32 s17, s4
	s_cbranch_scc1 .LBB4_64
; %bb.26:
	s_waitcnt lgkmcnt(0)
	s_bitcmp1_b32 s20, 0
	s_cselect_b32 s0, -1, 0
	s_delay_alu instid0(SALU_CYCLE_1) | instskip(SKIP_2) | instid1(SALU_CYCLE_1)
	s_xor_b32 s0, s0, -1
	s_cmp_eq_u64 s[22:23], 0
	s_cselect_b32 s1, -1, 0
	s_or_b32 s0, s1, s0
	s_delay_alu instid0(SALU_CYCLE_1)
	s_and_b32 vcc_lo, exec_lo, s0
	s_cbranch_vccnz .LBB4_28
; %bb.27:
	s_ashr_i32 s17, s16, 31
	ds_load_b128 v[5:8], v4
	s_lshl_b64 s[0:1], s[16:17], 2
	s_delay_alu instid0(SALU_CYCLE_1)
	s_add_u32 s0, s22, s0
	s_addc_u32 s1, s23, s1
	s_load_b32 s0, s[0:1], 0x0
	s_waitcnt lgkmcnt(0)
	v_dual_mul_f32 v5, s0, v5 :: v_dual_mul_f32 v6, s0, v6
	v_dual_mul_f32 v7, s0, v7 :: v_dual_mul_f32 v8, s0, v8
	ds_store_b128 v4, v[5:8]
.LBB4_28:
	s_cmp_lt_i32 s21, 1
	s_cbranch_scc1 .LBB4_30
; %bb.29:
	s_abs_i32 s0, s21
	s_abs_i32 s3, s16
	v_cvt_f32_u32_e32 v2, s0
	s_sub_i32 s2, 0, s0
	s_delay_alu instid0(VALU_DEP_1) | instskip(SKIP_2) | instid1(VALU_DEP_1)
	v_rcp_iflag_f32_e32 v2, v2
	s_waitcnt_depctr 0xfff
	v_mul_f32_e32 v2, 0x4f7ffffe, v2
	v_cvt_u32_f32_e32 v2, v2
	s_delay_alu instid0(VALU_DEP_1) | instskip(NEXT) | instid1(VALU_DEP_1)
	v_readfirstlane_b32 s1, v2
	s_mul_i32 s2, s2, s1
	s_delay_alu instid0(SALU_CYCLE_1) | instskip(NEXT) | instid1(SALU_CYCLE_1)
	s_mul_hi_u32 s2, s1, s2
	s_add_i32 s1, s1, s2
	s_xor_b32 s2, s16, s21
	s_mul_hi_u32 s1, s3, s1
	s_ashr_i32 s2, s2, 31
	s_mul_i32 s4, s1, s0
	s_delay_alu instid0(SALU_CYCLE_1)
	s_sub_i32 s3, s3, s4
	s_add_i32 s4, s1, 1
	s_sub_i32 s6, s3, s0
	s_cmp_ge_u32 s3, s0
	s_cselect_b32 s1, s4, s1
	s_cselect_b32 s3, s6, s3
	s_add_i32 s4, s1, 1
	s_cmp_ge_u32 s3, s0
	s_cselect_b32 s0, s4, s1
	s_delay_alu instid0(SALU_CYCLE_1) | instskip(NEXT) | instid1(SALU_CYCLE_1)
	s_xor_b32 s0, s0, s2
	s_sub_i32 s16, s0, s2
.LBB4_30:
	ds_load_b32 v2, v4
	s_mov_b32 s0, exec_lo
                                        ; implicit-def: $vgpr8
	s_waitcnt lgkmcnt(0)
	v_and_b32_e32 v3, 0x7f800000, v2
	s_delay_alu instid0(VALU_DEP_1)
	v_cmpx_ne_u32_e32 0x7f800000, v3
	s_xor_b32 s0, exec_lo, s0
; %bb.31:
	v_bfe_u32 v3, v2, 16, 1
	s_delay_alu instid0(VALU_DEP_1)
	v_add3_u32 v8, v2, v3, 0x7fff
                                        ; implicit-def: $vgpr2
; %bb.32:
	s_and_not1_saveexec_b32 s0, s0
; %bb.33:
	v_and_b32_e32 v3, 0xffff, v2
	v_or_b32_e32 v5, 0x10000, v2
	s_delay_alu instid0(VALU_DEP_2) | instskip(NEXT) | instid1(VALU_DEP_2)
	v_cmp_eq_u32_e32 vcc_lo, 0, v3
	v_cndmask_b32_e32 v8, v5, v2, vcc_lo
; %bb.34:
	s_or_b32 exec_lo, exec_lo, s0
	ds_load_b32 v2, v4 offset:4
	s_mov_b32 s0, exec_lo
                                        ; implicit-def: $vgpr7
	s_waitcnt lgkmcnt(0)
	v_and_b32_e32 v3, 0x7f800000, v2
	s_delay_alu instid0(VALU_DEP_1)
	v_cmpx_ne_u32_e32 0x7f800000, v3
	s_xor_b32 s0, exec_lo, s0
; %bb.35:
	v_bfe_u32 v3, v2, 16, 1
	s_delay_alu instid0(VALU_DEP_1)
	v_add3_u32 v7, v2, v3, 0x7fff
                                        ; implicit-def: $vgpr2
; %bb.36:
	s_and_not1_saveexec_b32 s0, s0
; %bb.37:
	v_and_b32_e32 v3, 0xffff, v2
	v_or_b32_e32 v5, 0x10000, v2
	s_delay_alu instid0(VALU_DEP_2) | instskip(NEXT) | instid1(VALU_DEP_2)
	v_cmp_eq_u32_e32 vcc_lo, 0, v3
	v_cndmask_b32_e32 v7, v5, v2, vcc_lo
; %bb.38:
	s_or_b32 exec_lo, exec_lo, s0
	ds_load_b32 v2, v4 offset:8
	s_mov_b32 s0, exec_lo
                                        ; implicit-def: $vgpr6
	s_waitcnt lgkmcnt(0)
	v_and_b32_e32 v3, 0x7f800000, v2
	s_delay_alu instid0(VALU_DEP_1)
	v_cmpx_ne_u32_e32 0x7f800000, v3
	s_xor_b32 s0, exec_lo, s0
; %bb.39:
	v_bfe_u32 v3, v2, 16, 1
	s_delay_alu instid0(VALU_DEP_1)
	v_add3_u32 v6, v2, v3, 0x7fff
                                        ; implicit-def: $vgpr2
; %bb.40:
	s_and_not1_saveexec_b32 s0, s0
; %bb.41:
	v_and_b32_e32 v3, 0xffff, v2
	v_or_b32_e32 v5, 0x10000, v2
	s_delay_alu instid0(VALU_DEP_2) | instskip(NEXT) | instid1(VALU_DEP_2)
	v_cmp_eq_u32_e32 vcc_lo, 0, v3
	v_cndmask_b32_e32 v6, v5, v2, vcc_lo
; %bb.42:
	s_or_b32 exec_lo, exec_lo, s0
	ds_load_b32 v2, v4 offset:12
	s_mov_b32 s0, exec_lo
                                        ; implicit-def: $vgpr9
	s_waitcnt lgkmcnt(0)
	v_and_b32_e32 v3, 0x7f800000, v2
	s_delay_alu instid0(VALU_DEP_1)
	v_cmpx_ne_u32_e32 0x7f800000, v3
	s_xor_b32 s0, exec_lo, s0
; %bb.43:
	v_bfe_u32 v3, v2, 16, 1
	s_delay_alu instid0(VALU_DEP_1)
	v_add3_u32 v9, v2, v3, 0x7fff
                                        ; implicit-def: $vgpr2
; %bb.44:
	s_and_not1_saveexec_b32 s0, s0
; %bb.45:
	v_and_b32_e32 v3, 0xffff, v2
	v_or_b32_e32 v4, 0x10000, v2
	s_delay_alu instid0(VALU_DEP_2) | instskip(NEXT) | instid1(VALU_DEP_2)
	v_cmp_eq_u32_e32 vcc_lo, 0, v3
	v_cndmask_b32_e32 v9, v4, v2, vcc_lo
; %bb.46:
	s_or_b32 exec_lo, exec_lo, s0
	s_mul_hi_i32 s1, s16, s5
	s_mul_i32 s0, s16, s5
	v_and_b32_e32 v6, 0xffff0000, v6
	s_lshl_b64 s[0:1], s[0:1], 1
	v_and_b32_e32 v7, 0xffff0000, v7
	s_add_u32 s0, s12, s0
	s_addc_u32 s1, s13, s1
	v_add_co_u32 v4, vcc_lo, s0, v0
	v_add_co_ci_u32_e32 v5, vcc_lo, s1, v1, vcc_lo
	v_and_b32_e32 v8, 0xffff0000, v8
	v_and_b32_e32 v9, 0xffff0000, v9
	s_mov_b32 s0, 0
	global_load_b64 v[2:3], v[4:5], off
	s_branch .LBB4_48
.LBB4_47:                               ;   in Loop: Header=BB4_48 Depth=1
	s_or_b32 exec_lo, exec_lo, s1
	v_lshrrev_b32_e32 v1, 16, v1
	s_delay_alu instid0(VALU_DEP_2) | instskip(SKIP_1) | instid1(VALU_DEP_2)
	v_and_b32_e32 v11, 0xffff0000, v12
	v_lshrrev_b32_e32 v0, 16, v0
	v_or_b32_e32 v1, v11, v1
	s_delay_alu instid0(VALU_DEP_2)
	v_and_or_b32 v0, 0xffff0000, v10, v0
	global_atomic_cmpswap_b64 v[0:1], v[4:5], v[0:3], off glc
	s_waitcnt vmcnt(0)
	v_cmp_eq_u64_e32 vcc_lo, v[0:1], v[2:3]
	v_dual_mov_b32 v3, v1 :: v_dual_mov_b32 v2, v0
	s_or_b32 s0, vcc_lo, s0
	s_delay_alu instid0(SALU_CYCLE_1)
	s_and_not1_b32 exec_lo, exec_lo, s0
	s_cbranch_execz .LBB4_64
.LBB4_48:                               ; =>This Inner Loop Header: Depth=1
	s_waitcnt vmcnt(0)
	v_lshlrev_b32_e32 v0, 16, v2
	s_delay_alu instid0(VALU_DEP_1) | instskip(NEXT) | instid1(VALU_DEP_1)
	v_add_f32_e32 v1, v8, v0
	v_and_b32_e32 v0, 0x7f800000, v1
	s_delay_alu instid0(VALU_DEP_1) | instskip(SKIP_1) | instid1(SALU_CYCLE_1)
	v_cmp_ne_u32_e32 vcc_lo, 0x7f800000, v0
                                        ; implicit-def: $vgpr0
	s_and_saveexec_b32 s1, vcc_lo
	s_xor_b32 s1, exec_lo, s1
; %bb.49:                               ;   in Loop: Header=BB4_48 Depth=1
	v_bfe_u32 v0, v1, 16, 1
	s_delay_alu instid0(VALU_DEP_1)
	v_add3_u32 v0, v1, v0, 0x7fff
                                        ; implicit-def: $vgpr1
; %bb.50:                               ;   in Loop: Header=BB4_48 Depth=1
	s_and_not1_saveexec_b32 s1, s1
; %bb.51:                               ;   in Loop: Header=BB4_48 Depth=1
	v_and_b32_e32 v0, 0xffff, v1
	v_or_b32_e32 v10, 0x10000, v1
	s_delay_alu instid0(VALU_DEP_2) | instskip(NEXT) | instid1(VALU_DEP_2)
	v_cmp_eq_u32_e32 vcc_lo, 0, v0
	v_cndmask_b32_e32 v0, v10, v1, vcc_lo
; %bb.52:                               ;   in Loop: Header=BB4_48 Depth=1
	s_or_b32 exec_lo, exec_lo, s1
	v_and_b32_e32 v1, 0xffff0000, v2
	s_delay_alu instid0(VALU_DEP_1) | instskip(NEXT) | instid1(VALU_DEP_1)
	v_add_f32_e32 v1, v7, v1
	v_and_b32_e32 v10, 0x7f800000, v1
	s_delay_alu instid0(VALU_DEP_1) | instskip(SKIP_1) | instid1(SALU_CYCLE_1)
	v_cmp_ne_u32_e32 vcc_lo, 0x7f800000, v10
                                        ; implicit-def: $vgpr10
	s_and_saveexec_b32 s1, vcc_lo
	s_xor_b32 s1, exec_lo, s1
; %bb.53:                               ;   in Loop: Header=BB4_48 Depth=1
	v_bfe_u32 v10, v1, 16, 1
	s_delay_alu instid0(VALU_DEP_1)
	v_add3_u32 v10, v1, v10, 0x7fff
                                        ; implicit-def: $vgpr1
; %bb.54:                               ;   in Loop: Header=BB4_48 Depth=1
	s_and_not1_saveexec_b32 s1, s1
; %bb.55:                               ;   in Loop: Header=BB4_48 Depth=1
	v_and_b32_e32 v10, 0xffff, v1
	v_or_b32_e32 v11, 0x10000, v1
	s_delay_alu instid0(VALU_DEP_2) | instskip(NEXT) | instid1(VALU_DEP_2)
	v_cmp_eq_u32_e32 vcc_lo, 0, v10
	v_cndmask_b32_e32 v10, v11, v1, vcc_lo
; %bb.56:                               ;   in Loop: Header=BB4_48 Depth=1
	s_or_b32 exec_lo, exec_lo, s1
	v_alignbit_b32 v1, v3, v2, 16
	s_delay_alu instid0(VALU_DEP_1) | instskip(NEXT) | instid1(VALU_DEP_1)
	v_and_b32_e32 v1, 0xffff0000, v1
	v_add_f32_e32 v11, v6, v1
	s_delay_alu instid0(VALU_DEP_1) | instskip(NEXT) | instid1(VALU_DEP_1)
	v_and_b32_e32 v1, 0x7f800000, v11
	v_cmp_ne_u32_e32 vcc_lo, 0x7f800000, v1
                                        ; implicit-def: $vgpr1
	s_and_saveexec_b32 s1, vcc_lo
	s_delay_alu instid0(SALU_CYCLE_1)
	s_xor_b32 s1, exec_lo, s1
; %bb.57:                               ;   in Loop: Header=BB4_48 Depth=1
	v_bfe_u32 v1, v11, 16, 1
	s_delay_alu instid0(VALU_DEP_1)
	v_add3_u32 v1, v11, v1, 0x7fff
                                        ; implicit-def: $vgpr11
; %bb.58:                               ;   in Loop: Header=BB4_48 Depth=1
	s_and_not1_saveexec_b32 s1, s1
; %bb.59:                               ;   in Loop: Header=BB4_48 Depth=1
	v_and_b32_e32 v1, 0xffff, v11
	v_or_b32_e32 v12, 0x10000, v11
	s_delay_alu instid0(VALU_DEP_2) | instskip(NEXT) | instid1(VALU_DEP_2)
	v_cmp_eq_u32_e32 vcc_lo, 0, v1
	v_cndmask_b32_e32 v1, v12, v11, vcc_lo
; %bb.60:                               ;   in Loop: Header=BB4_48 Depth=1
	s_or_b32 exec_lo, exec_lo, s1
	v_and_b32_e32 v11, 0xffff0000, v3
	s_delay_alu instid0(VALU_DEP_1) | instskip(NEXT) | instid1(VALU_DEP_1)
	v_add_f32_e32 v11, v9, v11
	v_and_b32_e32 v12, 0x7f800000, v11
	s_delay_alu instid0(VALU_DEP_1) | instskip(SKIP_1) | instid1(SALU_CYCLE_1)
	v_cmp_ne_u32_e32 vcc_lo, 0x7f800000, v12
                                        ; implicit-def: $vgpr12
	s_and_saveexec_b32 s1, vcc_lo
	s_xor_b32 s1, exec_lo, s1
; %bb.61:                               ;   in Loop: Header=BB4_48 Depth=1
	v_bfe_u32 v12, v11, 16, 1
	s_delay_alu instid0(VALU_DEP_1)
	v_add3_u32 v12, v11, v12, 0x7fff
                                        ; implicit-def: $vgpr11
; %bb.62:                               ;   in Loop: Header=BB4_48 Depth=1
	s_and_not1_saveexec_b32 s1, s1
	s_cbranch_execz .LBB4_47
; %bb.63:                               ;   in Loop: Header=BB4_48 Depth=1
	v_and_b32_e32 v12, 0xffff, v11
	v_or_b32_e32 v13, 0x10000, v11
	s_delay_alu instid0(VALU_DEP_2) | instskip(NEXT) | instid1(VALU_DEP_2)
	v_cmp_eq_u32_e32 vcc_lo, 0, v12
	v_cndmask_b32_e32 v12, v13, v11, vcc_lo
	s_branch .LBB4_47
.LBB4_64:
	s_endpgm
	.section	.rodata,"a",@progbits
	.p2align	6, 0x0
	.amdhsa_kernel _ZN4vllm14moe_gptq_rdna324moe_gemm_q4_kernel_rdna3I14__hip_bfloat16Li1EEEvPKT_PS3_PKjS5_S8_PKfPKiSC_SC_iiiiiiiibi
		.amdhsa_group_segment_fixed_size 32768
		.amdhsa_private_segment_fixed_size 0
		.amdhsa_kernarg_size 112
		.amdhsa_user_sgpr_count 13
		.amdhsa_user_sgpr_dispatch_ptr 1
		.amdhsa_user_sgpr_queue_ptr 0
		.amdhsa_user_sgpr_kernarg_segment_ptr 1
		.amdhsa_user_sgpr_dispatch_id 0
		.amdhsa_user_sgpr_private_segment_size 0
		.amdhsa_wavefront_size32 1
		.amdhsa_uses_dynamic_stack 0
		.amdhsa_enable_private_segment 0
		.amdhsa_system_sgpr_workgroup_id_x 1
		.amdhsa_system_sgpr_workgroup_id_y 1
		.amdhsa_system_sgpr_workgroup_id_z 1
		.amdhsa_system_sgpr_workgroup_info 0
		.amdhsa_system_vgpr_workitem_id 2
		.amdhsa_next_free_vgpr 29
		.amdhsa_next_free_sgpr 39
		.amdhsa_reserve_vcc 1
		.amdhsa_float_round_mode_32 0
		.amdhsa_float_round_mode_16_64 0
		.amdhsa_float_denorm_mode_32 3
		.amdhsa_float_denorm_mode_16_64 3
		.amdhsa_dx10_clamp 1
		.amdhsa_ieee_mode 1
		.amdhsa_fp16_overflow 0
		.amdhsa_workgroup_processor_mode 1
		.amdhsa_memory_ordered 1
		.amdhsa_forward_progress 0
		.amdhsa_shared_vgpr_count 0
		.amdhsa_exception_fp_ieee_invalid_op 0
		.amdhsa_exception_fp_denorm_src 0
		.amdhsa_exception_fp_ieee_div_zero 0
		.amdhsa_exception_fp_ieee_overflow 0
		.amdhsa_exception_fp_ieee_underflow 0
		.amdhsa_exception_fp_ieee_inexact 0
		.amdhsa_exception_int_div_zero 0
	.end_amdhsa_kernel
	.section	.text._ZN4vllm14moe_gptq_rdna324moe_gemm_q4_kernel_rdna3I14__hip_bfloat16Li1EEEvPKT_PS3_PKjS5_S8_PKfPKiSC_SC_iiiiiiiibi,"axG",@progbits,_ZN4vllm14moe_gptq_rdna324moe_gemm_q4_kernel_rdna3I14__hip_bfloat16Li1EEEvPKT_PS3_PKjS5_S8_PKfPKiSC_SC_iiiiiiiibi,comdat
.Lfunc_end4:
	.size	_ZN4vllm14moe_gptq_rdna324moe_gemm_q4_kernel_rdna3I14__hip_bfloat16Li1EEEvPKT_PS3_PKjS5_S8_PKfPKiSC_SC_iiiiiiiibi, .Lfunc_end4-_ZN4vllm14moe_gptq_rdna324moe_gemm_q4_kernel_rdna3I14__hip_bfloat16Li1EEEvPKT_PS3_PKjS5_S8_PKfPKiSC_SC_iiiiiiiibi
                                        ; -- End function
	.section	.AMDGPU.csdata,"",@progbits
; Kernel info:
; codeLenInByte = 4492
; NumSgprs: 41
; NumVgprs: 29
; ScratchSize: 0
; MemoryBound: 0
; FloatMode: 240
; IeeeMode: 1
; LDSByteSize: 32768 bytes/workgroup (compile time only)
; SGPRBlocks: 5
; VGPRBlocks: 3
; NumSGPRsForWavesPerEU: 41
; NumVGPRsForWavesPerEU: 29
; Occupancy: 16
; WaveLimiterHint : 1
; COMPUTE_PGM_RSRC2:SCRATCH_EN: 0
; COMPUTE_PGM_RSRC2:USER_SGPR: 13
; COMPUTE_PGM_RSRC2:TRAP_HANDLER: 0
; COMPUTE_PGM_RSRC2:TGID_X_EN: 1
; COMPUTE_PGM_RSRC2:TGID_Y_EN: 1
; COMPUTE_PGM_RSRC2:TGID_Z_EN: 1
; COMPUTE_PGM_RSRC2:TIDIG_COMP_CNT: 2
	.section	.text._ZN4vllm14moe_gptq_rdna324moe_gemm_q4_kernel_rdna3I14__hip_bfloat16Li2EEEvPKT_PS3_PKjS5_S8_PKfPKiSC_SC_iiiiiiiibi,"axG",@progbits,_ZN4vllm14moe_gptq_rdna324moe_gemm_q4_kernel_rdna3I14__hip_bfloat16Li2EEEvPKT_PS3_PKjS5_S8_PKfPKiSC_SC_iiiiiiiibi,comdat
	.protected	_ZN4vllm14moe_gptq_rdna324moe_gemm_q4_kernel_rdna3I14__hip_bfloat16Li2EEEvPKT_PS3_PKjS5_S8_PKfPKiSC_SC_iiiiiiiibi ; -- Begin function _ZN4vllm14moe_gptq_rdna324moe_gemm_q4_kernel_rdna3I14__hip_bfloat16Li2EEEvPKT_PS3_PKjS5_S8_PKfPKiSC_SC_iiiiiiiibi
	.globl	_ZN4vllm14moe_gptq_rdna324moe_gemm_q4_kernel_rdna3I14__hip_bfloat16Li2EEEvPKT_PS3_PKjS5_S8_PKfPKiSC_SC_iiiiiiiibi
	.p2align	8
	.type	_ZN4vllm14moe_gptq_rdna324moe_gemm_q4_kernel_rdna3I14__hip_bfloat16Li2EEEvPKT_PS3_PKjS5_S8_PKfPKiSC_SC_iiiiiiiibi,@function
_ZN4vllm14moe_gptq_rdna324moe_gemm_q4_kernel_rdna3I14__hip_bfloat16Li2EEEvPKT_PS3_PKjS5_S8_PKfPKiSC_SC_iiiiiiiibi: ; @_ZN4vllm14moe_gptq_rdna324moe_gemm_q4_kernel_rdna3I14__hip_bfloat16Li2EEEvPKT_PS3_PKjS5_S8_PKfPKiSC_SC_iiiiiiiibi
; %bb.0:
	s_load_b64 s[6:7], s[2:3], 0x40
	s_lshl_b32 s28, s13, 1
	s_waitcnt lgkmcnt(0)
	s_load_b32 s5, s[6:7], 0x0
	s_waitcnt lgkmcnt(0)
	s_cmp_ge_i32 s28, s5
	s_cbranch_scc1 .LBB5_103
; %bb.1:
	s_load_b64 s[6:7], s[2:3], 0x38
	s_mov_b32 s4, s13
	s_ashr_i32 s5, s13, 31
	s_delay_alu instid0(SALU_CYCLE_1)
	s_lshl_b64 s[4:5], s[4:5], 2
	s_waitcnt lgkmcnt(0)
	s_add_u32 s4, s6, s4
	s_addc_u32 s5, s7, s5
	s_load_b32 s33, s[4:5], 0x0
	s_waitcnt lgkmcnt(0)
	s_cmp_eq_u32 s33, -1
	s_cbranch_scc1 .LBB5_103
; %bb.2:
	s_clause 0x3
	s_load_b256 s[4:11], s[2:3], 0x48
	s_load_b256 s[16:23], s[2:3], 0x8
	s_load_b128 s[24:27], s[2:3], 0x28
	s_load_b64 s[12:13], s[2:3], 0x68
	v_and_b32_e32 v3, 0x3ff, v0
	s_lshl_b32 s30, s15, 8
	s_mov_b32 s34, exec_lo
	s_add_i32 s15, s30, 0x100
	s_delay_alu instid0(VALU_DEP_1)
	v_add_nc_u32_e32 v1, s30, v3
	s_waitcnt lgkmcnt(0)
	s_min_i32 s15, s15, s6
	s_delay_alu instid0(VALU_DEP_1) | instid1(SALU_CYCLE_1)
	v_cmpx_gt_i32_e64 s15, v1
	s_cbranch_execz .LBB5_8
; %bb.3:
	s_load_b64 s[2:3], s[2:3], 0x0
	s_ashr_i32 s31, s30, 31
	v_mov_b32_e32 v5, 0
	s_lshl_b64 s[36:37], s[30:31], 1
	v_mov_b32_e32 v6, 0
	s_waitcnt lgkmcnt(0)
	s_add_u32 s36, s2, s36
	s_addc_u32 s37, s3, s37
	s_ashr_i32 s29, s28, 31
	s_delay_alu instid0(SALU_CYCLE_1) | instskip(NEXT) | instid1(SALU_CYCLE_1)
	s_lshl_b64 s[2:3], s[28:29], 2
	s_add_u32 s2, s26, s2
	s_addc_u32 s3, s27, s3
	s_abs_i32 s29, s8
	s_load_b32 s38, s[2:3], 0x0
	v_cvt_f32_u32_e32 v1, s29
	s_sub_i32 s31, 0, s29
	s_delay_alu instid0(VALU_DEP_1) | instskip(SKIP_4) | instid1(VALU_DEP_1)
	v_rcp_iflag_f32_e32 v1, v1
	s_waitcnt_depctr 0xfff
	v_mul_f32_e32 v1, 0x4f7ffffe, v1
	s_waitcnt lgkmcnt(0)
	s_abs_i32 s39, s38
	v_cvt_u32_f32_e32 v1, v1
	s_ashr_i32 s38, s38, 31
	s_delay_alu instid0(VALU_DEP_1) | instskip(SKIP_1) | instid1(VALU_DEP_2)
	v_readfirstlane_b32 s35, v1
	v_lshlrev_b32_e32 v1, 1, v3
	s_mul_i32 s31, s31, s35
	s_delay_alu instid0(VALU_DEP_1)
	v_add_co_u32 v2, s36, s36, v1
	s_mul_hi_u32 s31, s35, s31
	v_add_co_ci_u32_e64 v4, null, s37, 0, s36
	s_add_i32 s35, s35, s31
	s_ashr_i32 s31, s8, 31
	s_mul_hi_u32 s40, s39, s35
	s_xor_b32 s38, s38, s31
	s_mul_i32 s41, s40, s29
	s_delay_alu instid0(SALU_CYCLE_1)
	s_sub_i32 s39, s39, s41
	s_add_i32 s41, s40, 1
	s_sub_i32 s42, s39, s29
	s_cmp_ge_u32 s39, s29
	s_cselect_b32 s40, s41, s40
	s_cselect_b32 s39, s42, s39
	s_add_i32 s41, s40, 1
	s_cmp_ge_u32 s39, s29
	s_cselect_b32 s39, s41, s40
	s_delay_alu instid0(SALU_CYCLE_1) | instskip(NEXT) | instid1(SALU_CYCLE_1)
	s_xor_b32 s39, s39, s38
	s_sub_i32 s36, s39, s38
	s_delay_alu instid0(SALU_CYCLE_1)
	s_cmp_ge_i32 s36, s4
	s_cbranch_scc1 .LBB5_5
; %bb.4:
	s_mul_hi_i32 s37, s36, s6
	s_mul_i32 s36, s36, s6
	s_delay_alu instid0(SALU_CYCLE_1) | instskip(NEXT) | instid1(SALU_CYCLE_1)
	s_lshl_b64 s[36:37], s[36:37], 1
	v_add_co_u32 v6, vcc_lo, v2, s36
	v_add_co_ci_u32_e32 v7, vcc_lo, s37, v4, vcc_lo
	global_load_u16 v6, v[6:7], off
.LBB5_5:
	s_load_b32 s2, s[2:3], 0x4
	s_waitcnt vmcnt(0)
	ds_store_b16 v1, v6
	s_waitcnt lgkmcnt(0)
	s_abs_i32 s3, s2
	s_ashr_i32 s2, s2, 31
	s_mul_hi_u32 s35, s3, s35
	s_xor_b32 s2, s2, s31
	s_mul_i32 s36, s35, s29
	s_add_i32 s31, s35, 1
	s_sub_i32 s3, s3, s36
	s_delay_alu instid0(SALU_CYCLE_1)
	s_sub_i32 s36, s3, s29
	s_cmp_ge_u32 s3, s29
	s_cselect_b32 s31, s31, s35
	s_cselect_b32 s3, s36, s3
	s_add_i32 s35, s31, 1
	s_cmp_ge_u32 s3, s29
	s_cselect_b32 s3, s35, s31
	s_delay_alu instid0(SALU_CYCLE_1) | instskip(NEXT) | instid1(SALU_CYCLE_1)
	s_xor_b32 s3, s3, s2
	s_sub_i32 s2, s3, s2
	s_delay_alu instid0(SALU_CYCLE_1)
	s_cmp_ge_i32 s2, s4
	s_cbranch_scc1 .LBB5_7
; %bb.6:
	s_mul_hi_i32 s3, s2, s6
	s_mul_i32 s2, s2, s6
	s_delay_alu instid0(SALU_CYCLE_1) | instskip(NEXT) | instid1(SALU_CYCLE_1)
	s_lshl_b64 s[2:3], s[2:3], 1
	v_add_co_u32 v5, vcc_lo, v2, s2
	v_add_co_ci_u32_e32 v6, vcc_lo, s3, v4, vcc_lo
	global_load_u16 v5, v[5:6], off
.LBB5_7:
	s_waitcnt vmcnt(0)
	ds_store_b16 v1, v5 offset:528
.LBB5_8:
	s_or_b32 exec_lo, exec_lo, s34
	v_lshlrev_b32_e32 v1, 2, v3
	s_waitcnt lgkmcnt(0)
	s_barrier
	buffer_gl0_inv
	s_mov_b32 s2, exec_lo
	v_lshl_add_u32 v1, s14, 10, v1
	s_delay_alu instid0(VALU_DEP_1)
	v_cmpx_gt_i32_e64 s5, v1
	s_cbranch_execz .LBB5_103
; %bb.9:
	s_load_b64 s[0:1], s[0:1], 0x4
	s_abs_i32 s2, s7
	v_bfe_u32 v4, v0, 10, 10
	v_cvt_f32_u32_e32 v2, s2
	s_sub_i32 s14, 0, s2
	s_abs_i32 s29, s6
	s_xor_b32 s7, s6, s7
	v_bfe_u32 v0, v0, 20, 10
	v_rcp_iflag_f32_e32 v2, v2
	s_ashr_i32 s7, s7, 31
	s_waitcnt lgkmcnt(0)
	s_lshr_b32 s0, s0, 16
	v_mul_u32_u24_e32 v4, s1, v4
	s_mul_i32 s0, s0, s1
	s_delay_alu instid0(SALU_CYCLE_1) | instskip(SKIP_1) | instid1(SALU_CYCLE_1)
	v_mul_lo_u32 v5, s0, v3
	s_mov_b32 s0, 0
	s_mov_b32 s1, s0
	s_waitcnt_depctr 0xfff
	v_mul_f32_e32 v2, 0x4f7ffffe, v2
	v_add3_u32 v0, v5, v4, v0
	s_delay_alu instid0(VALU_DEP_2) | instskip(NEXT) | instid1(VALU_DEP_2)
	v_cvt_u32_f32_e32 v2, v2
	v_lshlrev_b32_e32 v4, 5, v0
	s_delay_alu instid0(VALU_DEP_2) | instskip(NEXT) | instid1(VALU_DEP_1)
	v_readfirstlane_b32 s3, v2
	s_mul_i32 s14, s14, s3
	s_delay_alu instid0(SALU_CYCLE_1) | instskip(NEXT) | instid1(SALU_CYCLE_1)
	s_mul_hi_u32 s14, s3, s14
	s_add_i32 s3, s3, s14
	s_delay_alu instid0(SALU_CYCLE_1) | instskip(NEXT) | instid1(SALU_CYCLE_1)
	s_mul_hi_u32 s3, s29, s3
	s_mul_i32 s14, s3, s2
	s_delay_alu instid0(SALU_CYCLE_1)
	s_sub_i32 s14, s29, s14
	s_add_i32 s29, s3, 1
	s_sub_i32 s31, s14, s2
	s_cmp_ge_u32 s14, s2
	s_cselect_b32 s3, s29, s3
	s_cselect_b32 s14, s31, s14
	s_add_i32 s29, s3, 1
	s_cmp_ge_u32 s14, s2
	s_cselect_b32 s2, s29, s3
	s_mov_b32 s3, s0
	s_xor_b32 s2, s2, s7
	s_delay_alu instid0(SALU_CYCLE_1)
	s_sub_i32 s14, s2, s7
	s_mov_b32 s2, s0
	s_abs_i32 s7, s14
	v_dual_mov_b32 v8, s3 :: v_dual_mov_b32 v7, s2
	v_cvt_f32_u32_e32 v2, s7
	v_mov_b32_e32 v6, s1
	s_cmp_lt_i32 s30, s6
	v_mov_b32_e32 v5, s0
	ds_store_b128 v4, v[5:8] offset:1056
	ds_store_b128 v4, v[5:8] offset:1072
	v_rcp_iflag_f32_e32 v2, v2
	s_waitcnt_depctr 0xfff
	v_mul_f32_e32 v2, 0x4f7ffffe, v2
	s_delay_alu instid0(VALU_DEP_1) | instskip(NEXT) | instid1(VALU_DEP_1)
	v_cvt_u32_f32_e32 v2, v2
	v_readfirstlane_b32 s1, v2
	v_ashrrev_i32_e32 v2, 31, v1
	s_cbranch_scc1 .LBB5_11
; %bb.10:
	s_ashr_i32 s3, s5, 31
	s_mov_b32 s2, s5
	s_delay_alu instid0(VALU_DEP_1)
	v_lshlrev_b64 v[8:9], 1, v[1:2]
	v_add_nc_u32_e32 v14, 0x420, v4
	s_and_not1_b32 vcc_lo, exec_lo, s0
	s_cbranch_vccz .LBB5_12
	s_branch .LBB5_24
.LBB5_11:
                                        ; implicit-def: $sgpr2_sgpr3
	s_delay_alu instid0(VALU_DEP_1)
	v_lshlrev_b64 v[8:9], 1, v[1:2]
	v_add_nc_u32_e32 v14, 0x420, v4
.LBB5_12:
	s_sub_i32 s0, 0, s7
	s_mul_hi_i32 s3, s33, s10
	s_mul_i32 s0, s0, s1
	s_mul_i32 s2, s33, s10
	s_mul_hi_u32 s0, s1, s0
	s_abs_i32 s6, s30
	s_add_i32 s10, s1, s0
	s_lshl_b64 s[0:1], s[2:3], 1
	s_ashr_i32 s29, s30, 31
	s_ashr_i32 s31, s14, 31
	s_mul_hi_i32 s3, s33, s11
	s_mul_i32 s2, s33, s11
	s_add_u32 s34, s20, s0
	s_addc_u32 s11, s21, s1
	s_lshl_b64 s[0:1], s[2:3], 2
	s_mul_hi_u32 s2, s6, s10
	s_add_u32 s0, s22, s0
	s_addc_u32 s10, s23, s1
	s_mul_i32 s1, s2, s7
	v_lshrrev_b32_e32 v4, 29, v2
	s_sub_i32 s1, s6, s1
	s_xor_b32 s20, s29, s31
	s_add_i32 s3, s2, 1
	s_sub_i32 s6, s1, s7
	s_cmp_ge_u32 s1, s7
	v_add_nc_u32_e32 v4, v1, v4
	s_cselect_b32 s2, s3, s2
	s_cselect_b32 s1, s6, s1
	s_add_i32 s3, s2, 1
	s_cmp_ge_u32 s1, s7
	v_ashrrev_i32_e32 v4, 3, v4
	s_cselect_b32 s1, s3, s2
	s_ashr_i32 s3, s5, 31
	s_xor_b32 s1, s1, s20
	s_lshr_b32 s2, s3, 29
	v_ashrrev_i32_e32 v5, 31, v4
	s_add_i32 s2, s5, s2
	s_sub_i32 s1, s1, s20
	s_ashr_i32 s20, s2, 3
	v_lshlrev_b32_e32 v3, 4, v3
	s_mul_i32 s6, s1, s20
	v_lshlrev_b64 v[4:5], 2, v[4:5]
	s_ashr_i32 s7, s6, 31
	v_lshl_add_u32 v15, v0, 4, 0x8420
	s_lshl_b64 s[6:7], s[6:7], 2
	v_lshlrev_b64 v[0:1], 2, v[1:2]
	s_add_u32 s2, s0, s6
	s_addc_u32 s21, s10, s7
	v_add_co_u32 v6, vcc_lo, s2, v4
	v_add_co_ci_u32_e32 v7, vcc_lo, s21, v5, vcc_lo
	s_mul_i32 s6, s1, s5
	v_and_b32_e32 v16, 16, v3
	s_ashr_i32 s7, s6, 31
	global_load_b32 v12, v[6:7], off
	s_lshl_b64 s[6:7], s[6:7], 1
	s_delay_alu instid0(SALU_CYCLE_1)
	s_add_u32 s2, s34, s6
	s_addc_u32 s6, s11, s7
	v_add_co_u32 v6, vcc_lo, s2, v8
	v_add_co_ci_u32_e32 v7, vcc_lo, s6, v9, vcc_lo
	s_mul_hi_i32 s7, s33, s9
	s_mul_i32 s6, s33, s9
	v_add_co_u32 v17, vcc_lo, s34, v8
	global_load_b64 v[6:7], v[6:7], off
	s_lshl_b64 s[6:7], s[6:7], 2
	v_add_co_ci_u32_e32 v18, vcc_lo, s11, v9, vcc_lo
	s_add_u32 s9, s18, s6
	s_addc_u32 s18, s19, s7
	s_ashr_i32 s6, s30, 3
	v_add_co_u32 v19, vcc_lo, s0, v4
	s_mul_i32 s6, s6, s5
	v_add_co_ci_u32_e32 v20, vcc_lo, s10, v5, vcc_lo
	s_ashr_i32 s7, s6, 31
	s_mov_b32 s2, s5
	s_lshl_b64 s[6:7], s[6:7], 2
	s_mov_b32 s19, s30
	s_add_u32 s0, s9, s6
	s_addc_u32 s6, s18, s7
	v_add_co_u32 v10, vcc_lo, s0, v0
	v_add_co_ci_u32_e32 v11, vcc_lo, s6, v1, vcc_lo
	s_lshl_b32 s10, s5, 2
	s_add_i32 s7, s1, 1
	s_ashr_i32 s11, s10, 31
	s_mul_i32 s9, s7, s14
	s_lshl_b64 s[6:7], s[2:3], 2
	s_mov_b32 s18, 0xf000f
	s_lshl_b64 s[10:11], s[10:11], 2
	s_waitcnt vmcnt(1)
	v_lshrrev_b32_e32 v2, v3, v12
	v_bfe_u32 v0, v12, v16, 4
	s_delay_alu instid0(VALU_DEP_2) | instskip(SKIP_2) | instid1(VALU_DEP_4)
	v_bfe_u32 v1, v2, 4, 4
	v_bfe_u32 v3, v2, 8, 4
	v_bfe_u32 v2, v2, 12, 4
	v_add_nc_u32_e32 v0, 0x81, v0
	s_delay_alu instid0(VALU_DEP_4) | instskip(NEXT) | instid1(VALU_DEP_4)
	v_add_nc_u32_e32 v1, 0x81, v1
	v_add_nc_u32_e32 v3, 0x81, v3
	s_delay_alu instid0(VALU_DEP_4)
	v_add_nc_u32_e32 v2, 0x81, v2
	s_waitcnt vmcnt(0)
	v_lshlrev_b32_e32 v21, 16, v6
	v_and_b32_e32 v22, 0xffff0000, v6
	v_lshlrev_b32_e32 v23, 16, v7
	v_and_b32_e32 v24, 0xffff0000, v7
	v_cvt_f32_ubyte0_e32 v0, v0
	v_cvt_f32_ubyte0_e32 v1, v1
	;; [unrolled: 1-line block ×4, first 2 shown]
	s_delay_alu instid0(VALU_DEP_4) | instskip(NEXT) | instid1(VALU_DEP_4)
	v_mul_f32_e64 v25, -v0, v21
	v_mul_f32_e64 v26, -v1, v22
	s_delay_alu instid0(VALU_DEP_4) | instskip(NEXT) | instid1(VALU_DEP_4)
	v_mul_f32_e64 v27, -v3, v23
	v_mul_f32_e64 v28, -v2, v24
.LBB5_13:                               ; =>This Loop Header: Depth=1
                                        ;     Child Loop BB5_16 Depth 2
                                        ;     Child Loop BB5_18 Depth 2
	;; [unrolled: 1-line block ×4, first 2 shown]
	s_cmp_lg_u32 s19, s9
	s_cbranch_scc1 .LBB5_15
; %bb.14:                               ;   in Loop: Header=BB5_13 Depth=1
	s_add_i32 s1, s1, 1
	s_add_i32 s9, s9, s14
	s_mul_i32 s22, s1, s20
	s_mul_i32 s34, s1, s5
	s_ashr_i32 s23, s22, 31
	s_ashr_i32 s35, s34, 31
	s_lshl_b64 s[22:23], s[22:23], 2
	s_delay_alu instid0(SALU_CYCLE_1) | instskip(SKIP_2) | instid1(SALU_CYCLE_1)
	v_add_co_u32 v0, vcc_lo, v19, s22
	v_add_co_ci_u32_e32 v1, vcc_lo, s23, v20, vcc_lo
	s_lshl_b64 s[22:23], s[34:35], 1
	v_add_co_u32 v2, vcc_lo, v17, s22
	v_add_co_ci_u32_e32 v3, vcc_lo, s23, v18, vcc_lo
	global_load_b32 v4, v[0:1], off
	global_load_b64 v[0:1], v[2:3], off
	s_waitcnt vmcnt(1)
	v_lshrrev_b32_e32 v2, v16, v4
	v_bfe_u32 v3, v4, v16, 4
	s_waitcnt vmcnt(0)
	v_lshlrev_b32_e32 v21, 16, v0
	v_and_b32_e32 v22, 0xffff0000, v0
	v_lshlrev_b32_e32 v23, 16, v1
	v_bfe_u32 v0, v2, 4, 4
	v_bfe_u32 v4, v2, 8, 4
	v_bfe_u32 v2, v2, 12, 4
	v_add_nc_u32_e32 v3, 0x81, v3
	v_and_b32_e32 v24, 0xffff0000, v1
	v_add_nc_u32_e32 v0, 0x81, v0
	v_add_nc_u32_e32 v4, 0x81, v4
	v_add_nc_u32_e32 v2, 0x81, v2
	v_cvt_f32_ubyte0_e32 v1, v3
	s_delay_alu instid0(VALU_DEP_4) | instskip(NEXT) | instid1(VALU_DEP_4)
	v_cvt_f32_ubyte0_e32 v0, v0
	v_cvt_f32_ubyte0_e32 v3, v4
	s_delay_alu instid0(VALU_DEP_4) | instskip(NEXT) | instid1(VALU_DEP_4)
	v_cvt_f32_ubyte0_e32 v2, v2
	v_mul_f32_e64 v25, -v1, v21
	s_delay_alu instid0(VALU_DEP_4) | instskip(NEXT) | instid1(VALU_DEP_4)
	v_mul_f32_e64 v26, -v0, v22
	v_mul_f32_e64 v27, -v3, v23
	s_delay_alu instid0(VALU_DEP_4)
	v_mul_f32_e64 v28, -v2, v24
.LBB5_15:                               ;   in Loop: Header=BB5_13 Depth=1
	global_load_b128 v[31:34], v[10:11], off
	s_sub_i32 s0, s19, s30
	v_mov_b32_e32 v30, v15
	s_lshl_b32 s21, s0, 1
	s_delay_alu instid0(SALU_CYCLE_1)
	v_dual_mov_b32 v29, v14 :: v_dual_mov_b32 v4, s21
	s_mov_b32 s22, 0
	ds_load_b128 v[0:3], v4
	ds_load_b128 v[4:7], v4 offset:528
	s_waitcnt lgkmcnt(1)
	v_dot2_f32_bf16 v12, v0, 0x3f803f80, 0
	s_waitcnt lgkmcnt(0)
	v_dot2_f32_bf16 v13, v4, 0x3f803f80, 0
	s_delay_alu instid0(VALU_DEP_2) | instskip(NEXT) | instid1(VALU_DEP_2)
	v_dot2_f32_bf16 v12, v1, 0x3f803f80, v12
	v_dot2_f32_bf16 v13, v5, 0x3f803f80, v13
	s_delay_alu instid0(VALU_DEP_2) | instskip(NEXT) | instid1(VALU_DEP_2)
	v_dot2_f32_bf16 v12, v2, 0x3f803f80, v12
	;; [unrolled: 3-line block ×3, first 2 shown]
	v_dot2_f32_bf16 v13, v7, 0x3f803f80, v13
	s_waitcnt vmcnt(0)
	ds_store_b128 v15, v[31:34]
.LBB5_16:                               ;   Parent Loop BB5_13 Depth=1
                                        ; =>  This Inner Loop Header: Depth=2
	ds_load_b32 v33, v30
	ds_load_2addr_b32 v[31:32], v29 offset1:4
	s_cmp_eq_u32 s22, 1
	v_add_nc_u32_e32 v30, 4, v30
	s_cselect_b32 vcc_lo, -1, 0
	s_cmp_eq_u32 s22, 2
	v_cndmask_b32_e32 v35, v25, v26, vcc_lo
	s_cselect_b32 s0, -1, 0
	s_cmp_eq_u32 s22, 3
	s_delay_alu instid0(VALU_DEP_1) | instskip(SKIP_3) | instid1(VALU_DEP_2)
	v_cndmask_b32_e64 v35, v35, v27, s0
	v_cndmask_b32_e32 v34, v21, v22, vcc_lo
	s_cselect_b32 vcc_lo, -1, 0
	s_add_i32 s22, s22, 1
	v_cndmask_b32_e32 v35, v35, v28, vcc_lo
	s_delay_alu instid0(VALU_DEP_2)
	v_cndmask_b32_e64 v34, v34, v23, s0
	s_cmp_eq_u32 s22, 4
	s_waitcnt lgkmcnt(1)
	v_lshrrev_b32_e32 v36, 4, v33
	v_and_or_b32 v37, v33, s18, 0x43004300
	v_lshrrev_b32_e32 v38, 8, v33
	v_lshrrev_b32_e32 v33, 12, v33
	v_cndmask_b32_e32 v34, v34, v24, vcc_lo
	v_and_or_b32 v36, v36, s18, 0x43004300
	v_dot2_f32_bf16 v39, v0, v37, 0
	v_dot2_f32_bf16 v37, v4, v37, 0
	v_and_or_b32 v38, v38, s18, 0x43004300
	v_and_or_b32 v33, v33, s18, 0x43004300
	s_waitcnt lgkmcnt(0)
	v_fma_f32 v31, v35, v12, v31
	v_dot2_f32_bf16 v39, v1, v36, v39
	v_dot2_f32_bf16 v36, v5, v36, v37
	v_fmac_f32_e32 v32, v35, v13
	s_delay_alu instid0(VALU_DEP_3) | instskip(NEXT) | instid1(VALU_DEP_3)
	v_dot2_f32_bf16 v37, v2, v38, v39
	v_dot2_f32_bf16 v36, v6, v38, v36
	s_delay_alu instid0(VALU_DEP_2) | instskip(NEXT) | instid1(VALU_DEP_2)
	v_dot2_f32_bf16 v35, v3, v33, v37
	v_dot2_f32_bf16 v33, v7, v33, v36
	s_delay_alu instid0(VALU_DEP_2) | instskip(NEXT) | instid1(VALU_DEP_2)
	v_fmac_f32_e32 v31, v34, v35
	v_fmac_f32_e32 v32, v34, v33
	ds_store_2addr_b32 v29, v31, v32 offset1:4
	v_add_nc_u32_e32 v29, 4, v29
	s_cbranch_scc0 .LBB5_16
; %bb.17:                               ;   in Loop: Header=BB5_13 Depth=1
	v_add_co_u32 v12, vcc_lo, v10, s6
	v_add_co_ci_u32_e32 v13, vcc_lo, s7, v11, vcc_lo
	v_dual_mov_b32 v4, s21 :: v_dual_mov_b32 v31, v15
	v_mov_b32_e32 v32, v14
	global_load_b128 v[33:36], v[12:13], off
	ds_load_b128 v[0:3], v4 offset:16
	ds_load_b128 v[4:7], v4 offset:544
	s_mov_b32 s22, 0
	s_waitcnt lgkmcnt(1)
	v_dot2_f32_bf16 v29, v0, 0x3f803f80, 0
	s_waitcnt lgkmcnt(0)
	v_dot2_f32_bf16 v30, v4, 0x3f803f80, 0
	s_delay_alu instid0(VALU_DEP_2) | instskip(NEXT) | instid1(VALU_DEP_2)
	v_dot2_f32_bf16 v29, v1, 0x3f803f80, v29
	v_dot2_f32_bf16 v30, v5, 0x3f803f80, v30
	s_delay_alu instid0(VALU_DEP_2) | instskip(NEXT) | instid1(VALU_DEP_2)
	v_dot2_f32_bf16 v29, v2, 0x3f803f80, v29
	;; [unrolled: 3-line block ×3, first 2 shown]
	v_dot2_f32_bf16 v30, v7, 0x3f803f80, v30
	s_waitcnt vmcnt(0)
	ds_store_b128 v15, v[33:36]
.LBB5_18:                               ;   Parent Loop BB5_13 Depth=1
                                        ; =>  This Inner Loop Header: Depth=2
	ds_load_b32 v35, v31
	s_cmp_eq_u32 s22, 1
	ds_load_2addr_b32 v[33:34], v32 offset1:4
	s_cselect_b32 vcc_lo, -1, 0
	s_cmp_eq_u32 s22, 2
	v_dual_cndmask_b32 v36, v21, v22 :: v_dual_add_nc_u32 v31, 4, v31
	s_cselect_b32 s0, -1, 0
	s_cmp_eq_u32 s22, 3
	s_delay_alu instid0(VALU_DEP_1) | instskip(SKIP_3) | instid1(VALU_DEP_2)
	v_cndmask_b32_e64 v36, v36, v23, s0
	v_cndmask_b32_e32 v37, v25, v26, vcc_lo
	s_cselect_b32 vcc_lo, -1, 0
	s_add_i32 s22, s22, 1
	v_cndmask_b32_e32 v36, v36, v24, vcc_lo
	s_delay_alu instid0(VALU_DEP_2)
	v_cndmask_b32_e64 v37, v37, v27, s0
	s_cmp_lg_u32 s22, 4
	s_waitcnt lgkmcnt(1)
	v_lshrrev_b32_e32 v38, 4, v35
	v_and_or_b32 v39, v35, s18, 0x43004300
	v_lshrrev_b32_e32 v40, 8, v35
	v_lshrrev_b32_e32 v35, 12, v35
	v_cndmask_b32_e32 v37, v37, v28, vcc_lo
	v_and_or_b32 v38, v38, s18, 0x43004300
	v_dot2_f32_bf16 v41, v0, v39, 0
	v_dot2_f32_bf16 v39, v4, v39, 0
	v_and_or_b32 v40, v40, s18, 0x43004300
	v_and_or_b32 v35, v35, s18, 0x43004300
	s_waitcnt lgkmcnt(0)
	v_fma_f32 v33, v37, v29, v33
	v_dot2_f32_bf16 v41, v1, v38, v41
	v_dot2_f32_bf16 v38, v5, v38, v39
	v_fmac_f32_e32 v34, v37, v30
	s_delay_alu instid0(VALU_DEP_3) | instskip(NEXT) | instid1(VALU_DEP_3)
	v_dot2_f32_bf16 v39, v2, v40, v41
	v_dot2_f32_bf16 v38, v6, v40, v38
	s_delay_alu instid0(VALU_DEP_2) | instskip(NEXT) | instid1(VALU_DEP_2)
	v_dot2_f32_bf16 v37, v3, v35, v39
	v_dot2_f32_bf16 v35, v7, v35, v38
	s_delay_alu instid0(VALU_DEP_2) | instskip(NEXT) | instid1(VALU_DEP_2)
	v_fmac_f32_e32 v33, v36, v37
	v_fmac_f32_e32 v34, v36, v35
	ds_store_2addr_b32 v32, v33, v34 offset1:4
	v_add_nc_u32_e32 v32, 4, v32
	s_cbranch_scc1 .LBB5_18
; %bb.19:                               ;   in Loop: Header=BB5_13 Depth=1
	v_add_co_u32 v12, vcc_lo, v12, s6
	v_add_co_ci_u32_e32 v13, vcc_lo, s7, v13, vcc_lo
	v_dual_mov_b32 v4, s21 :: v_dual_mov_b32 v31, v15
	v_mov_b32_e32 v32, v14
	global_load_b128 v[33:36], v[12:13], off
	ds_load_b128 v[0:3], v4 offset:32
	ds_load_b128 v[4:7], v4 offset:560
	s_mov_b32 s22, 0
	s_waitcnt lgkmcnt(1)
	v_dot2_f32_bf16 v29, v0, 0x3f803f80, 0
	s_waitcnt lgkmcnt(0)
	v_dot2_f32_bf16 v30, v4, 0x3f803f80, 0
	s_delay_alu instid0(VALU_DEP_2) | instskip(NEXT) | instid1(VALU_DEP_2)
	v_dot2_f32_bf16 v29, v1, 0x3f803f80, v29
	v_dot2_f32_bf16 v30, v5, 0x3f803f80, v30
	s_delay_alu instid0(VALU_DEP_2) | instskip(NEXT) | instid1(VALU_DEP_2)
	v_dot2_f32_bf16 v29, v2, 0x3f803f80, v29
	;; [unrolled: 3-line block ×3, first 2 shown]
	v_dot2_f32_bf16 v30, v7, 0x3f803f80, v30
	s_waitcnt vmcnt(0)
	ds_store_b128 v15, v[33:36]
.LBB5_20:                               ;   Parent Loop BB5_13 Depth=1
                                        ; =>  This Inner Loop Header: Depth=2
	ds_load_b32 v35, v31
	s_cmp_eq_u32 s22, 1
	ds_load_2addr_b32 v[33:34], v32 offset1:4
	s_cselect_b32 vcc_lo, -1, 0
	s_cmp_eq_u32 s22, 2
	v_dual_cndmask_b32 v36, v21, v22 :: v_dual_add_nc_u32 v31, 4, v31
	s_cselect_b32 s0, -1, 0
	s_cmp_eq_u32 s22, 3
	s_delay_alu instid0(VALU_DEP_1) | instskip(SKIP_3) | instid1(VALU_DEP_2)
	v_cndmask_b32_e64 v36, v36, v23, s0
	v_cndmask_b32_e32 v37, v25, v26, vcc_lo
	s_cselect_b32 vcc_lo, -1, 0
	s_add_i32 s22, s22, 1
	v_cndmask_b32_e32 v36, v36, v24, vcc_lo
	s_delay_alu instid0(VALU_DEP_2)
	v_cndmask_b32_e64 v37, v37, v27, s0
	s_cmp_lg_u32 s22, 4
	s_waitcnt lgkmcnt(1)
	v_lshrrev_b32_e32 v38, 4, v35
	v_and_or_b32 v39, v35, s18, 0x43004300
	v_lshrrev_b32_e32 v40, 8, v35
	v_lshrrev_b32_e32 v35, 12, v35
	v_cndmask_b32_e32 v37, v37, v28, vcc_lo
	v_and_or_b32 v38, v38, s18, 0x43004300
	v_dot2_f32_bf16 v41, v0, v39, 0
	v_dot2_f32_bf16 v39, v4, v39, 0
	v_and_or_b32 v40, v40, s18, 0x43004300
	v_and_or_b32 v35, v35, s18, 0x43004300
	s_waitcnt lgkmcnt(0)
	v_fma_f32 v33, v37, v29, v33
	v_dot2_f32_bf16 v41, v1, v38, v41
	v_dot2_f32_bf16 v38, v5, v38, v39
	v_fmac_f32_e32 v34, v37, v30
	s_delay_alu instid0(VALU_DEP_3) | instskip(NEXT) | instid1(VALU_DEP_3)
	v_dot2_f32_bf16 v39, v2, v40, v41
	v_dot2_f32_bf16 v38, v6, v40, v38
	s_delay_alu instid0(VALU_DEP_2) | instskip(NEXT) | instid1(VALU_DEP_2)
	v_dot2_f32_bf16 v37, v3, v35, v39
	v_dot2_f32_bf16 v35, v7, v35, v38
	s_delay_alu instid0(VALU_DEP_2) | instskip(NEXT) | instid1(VALU_DEP_2)
	v_fmac_f32_e32 v33, v36, v37
	v_fmac_f32_e32 v34, v36, v35
	ds_store_2addr_b32 v32, v33, v34 offset1:4
	v_add_nc_u32_e32 v32, 4, v32
	s_cbranch_scc1 .LBB5_20
; %bb.21:                               ;   in Loop: Header=BB5_13 Depth=1
	v_add_co_u32 v0, vcc_lo, v12, s6
	v_add_co_ci_u32_e32 v1, vcc_lo, s7, v13, vcc_lo
	v_dual_mov_b32 v4, s21 :: v_dual_mov_b32 v29, v15
	v_mov_b32_e32 v30, v14
	global_load_b128 v[31:34], v[0:1], off
	ds_load_b128 v[0:3], v4 offset:48
	ds_load_b128 v[4:7], v4 offset:576
	s_mov_b32 s21, 0
	s_waitcnt lgkmcnt(1)
	v_dot2_f32_bf16 v12, v0, 0x3f803f80, 0
	s_waitcnt lgkmcnt(0)
	v_dot2_f32_bf16 v13, v4, 0x3f803f80, 0
	s_delay_alu instid0(VALU_DEP_2) | instskip(NEXT) | instid1(VALU_DEP_2)
	v_dot2_f32_bf16 v12, v1, 0x3f803f80, v12
	v_dot2_f32_bf16 v13, v5, 0x3f803f80, v13
	s_delay_alu instid0(VALU_DEP_2) | instskip(NEXT) | instid1(VALU_DEP_2)
	v_dot2_f32_bf16 v12, v2, 0x3f803f80, v12
	;; [unrolled: 3-line block ×3, first 2 shown]
	v_dot2_f32_bf16 v13, v7, 0x3f803f80, v13
	s_waitcnt vmcnt(0)
	ds_store_b128 v15, v[31:34]
.LBB5_22:                               ;   Parent Loop BB5_13 Depth=1
                                        ; =>  This Inner Loop Header: Depth=2
	ds_load_b32 v33, v29
	ds_load_2addr_b32 v[31:32], v30 offset1:4
	s_cmp_eq_u32 s21, 1
	v_add_nc_u32_e32 v29, 4, v29
	s_cselect_b32 vcc_lo, -1, 0
	s_cmp_eq_u32 s21, 2
	v_cndmask_b32_e32 v35, v25, v26, vcc_lo
	s_cselect_b32 s0, -1, 0
	s_cmp_eq_u32 s21, 3
	s_delay_alu instid0(VALU_DEP_1) | instskip(SKIP_3) | instid1(VALU_DEP_2)
	v_cndmask_b32_e64 v35, v35, v27, s0
	v_cndmask_b32_e32 v34, v21, v22, vcc_lo
	s_cselect_b32 vcc_lo, -1, 0
	s_add_i32 s21, s21, 1
	v_cndmask_b32_e32 v35, v35, v28, vcc_lo
	s_delay_alu instid0(VALU_DEP_2)
	v_cndmask_b32_e64 v34, v34, v23, s0
	s_cmp_lg_u32 s21, 4
	s_waitcnt lgkmcnt(1)
	v_lshrrev_b32_e32 v36, 4, v33
	v_and_or_b32 v37, v33, s18, 0x43004300
	v_lshrrev_b32_e32 v38, 8, v33
	v_lshrrev_b32_e32 v33, 12, v33
	v_cndmask_b32_e32 v34, v34, v24, vcc_lo
	v_and_or_b32 v36, v36, s18, 0x43004300
	v_dot2_f32_bf16 v39, v0, v37, 0
	v_dot2_f32_bf16 v37, v4, v37, 0
	v_and_or_b32 v38, v38, s18, 0x43004300
	v_and_or_b32 v33, v33, s18, 0x43004300
	s_waitcnt lgkmcnt(0)
	v_fma_f32 v31, v35, v12, v31
	v_dot2_f32_bf16 v39, v1, v36, v39
	v_dot2_f32_bf16 v36, v5, v36, v37
	v_fmac_f32_e32 v32, v35, v13
	s_delay_alu instid0(VALU_DEP_3) | instskip(NEXT) | instid1(VALU_DEP_3)
	v_dot2_f32_bf16 v37, v2, v38, v39
	v_dot2_f32_bf16 v36, v6, v38, v36
	s_delay_alu instid0(VALU_DEP_2) | instskip(NEXT) | instid1(VALU_DEP_2)
	v_dot2_f32_bf16 v35, v3, v33, v37
	v_dot2_f32_bf16 v33, v7, v33, v36
	s_delay_alu instid0(VALU_DEP_2) | instskip(NEXT) | instid1(VALU_DEP_2)
	v_fmac_f32_e32 v31, v34, v35
	v_fmac_f32_e32 v32, v34, v33
	ds_store_2addr_b32 v30, v31, v32 offset1:4
	v_add_nc_u32_e32 v30, 4, v30
	s_cbranch_scc1 .LBB5_22
; %bb.23:                               ;   in Loop: Header=BB5_13 Depth=1
	v_add_co_u32 v10, vcc_lo, v10, s10
	v_add_co_ci_u32_e32 v11, vcc_lo, s11, v11, vcc_lo
	s_add_i32 s19, s19, 32
	s_delay_alu instid0(SALU_CYCLE_1)
	s_cmp_ge_i32 s19, s15
	s_cbranch_scc0 .LBB5_13
.LBB5_24:
	s_bitcmp1_b32 s12, 0
	v_add_co_u32 v6, vcc_lo, s16, v8
	s_cselect_b32 s0, -1, 0
	s_cmp_lg_u64 s[24:25], 0
	v_add_co_ci_u32_e32 v7, vcc_lo, s17, v9, vcc_lo
	s_cselect_b32 s1, -1, 0
	s_delay_alu instid0(SALU_CYCLE_1) | instskip(SKIP_4) | instid1(SALU_CYCLE_1)
	s_and_b32 s9, s1, s0
	s_cmp_gt_i32 s13, 0
	v_cndmask_b32_e64 v0, 0, 1, s9
	s_cselect_b32 s5, -1, 0
	s_ashr_i32 s29, s28, 31
	s_lshl_b64 s[0:1], s[28:29], 2
	s_delay_alu instid0(VALU_DEP_1)
	v_cmp_ne_u32_e32 vcc_lo, 1, v0
	s_add_u32 s0, s26, s0
	s_addc_u32 s1, s27, s1
	s_abs_i32 s10, s8
	s_load_b32 s6, s[0:1], 0x0
	v_cvt_f32_u32_e32 v1, s10
	s_sub_i32 s7, 0, s10
	s_ashr_i32 s8, s8, 31
	s_delay_alu instid0(VALU_DEP_1) | instskip(SKIP_4) | instid1(VALU_DEP_1)
	v_rcp_iflag_f32_e32 v1, v1
	s_waitcnt_depctr 0xfff
	v_mul_f32_e32 v1, 0x4f7ffffe, v1
	s_waitcnt lgkmcnt(0)
	s_abs_i32 s12, s6
	v_cvt_u32_f32_e32 v1, v1
	s_delay_alu instid0(VALU_DEP_1) | instskip(NEXT) | instid1(VALU_DEP_1)
	v_readfirstlane_b32 s11, v1
	s_mul_i32 s7, s7, s11
	s_delay_alu instid0(SALU_CYCLE_1) | instskip(NEXT) | instid1(SALU_CYCLE_1)
	s_mul_hi_u32 s7, s11, s7
	s_add_i32 s11, s11, s7
	s_ashr_i32 s7, s6, 31
	s_mul_hi_u32 s14, s12, s11
	s_xor_b32 s18, s7, s8
	s_mul_i32 s15, s14, s10
	s_add_i32 s19, s14, 1
	s_sub_i32 s15, s12, s15
	s_delay_alu instid0(SALU_CYCLE_1)
	s_sub_i32 s20, s15, s10
	s_cmp_ge_u32 s15, s10
	s_cselect_b32 s14, s19, s14
	s_cselect_b32 s15, s20, s15
	s_add_i32 s19, s14, 1
	s_cmp_ge_u32 s15, s10
	s_cselect_b32 s14, s19, s14
	s_delay_alu instid0(SALU_CYCLE_1) | instskip(NEXT) | instid1(SALU_CYCLE_1)
	s_xor_b32 s14, s14, s18
	s_sub_i32 s14, s14, s18
	s_delay_alu instid0(SALU_CYCLE_1)
	s_cmp_lt_i32 s14, s4
	s_cbranch_scc0 .LBB5_64
; %bb.25:
	s_and_b32 vcc_lo, exec_lo, vcc_lo
	s_cbranch_vccnz .LBB5_27
; %bb.26:
	s_lshl_b64 s[14:15], s[6:7], 2
	ds_load_b128 v[0:3], v14
	s_add_u32 s14, s24, s14
	s_addc_u32 s15, s25, s15
	s_load_b32 s14, s[14:15], 0x0
	s_waitcnt lgkmcnt(0)
	v_dual_mul_f32 v0, s14, v0 :: v_dual_mul_f32 v1, s14, v1
	v_dual_mul_f32 v2, s14, v2 :: v_dual_mul_f32 v3, s14, v3
	ds_store_b128 v14, v[0:3]
.LBB5_27:
	s_and_not1_b32 vcc_lo, exec_lo, s5
	s_cbranch_vccnz .LBB5_29
; %bb.28:
	s_abs_i32 s6, s13
	s_delay_alu instid0(SALU_CYCLE_1) | instskip(SKIP_1) | instid1(VALU_DEP_1)
	v_cvt_f32_u32_e32 v0, s6
	s_sub_i32 s15, 0, s6
	v_rcp_iflag_f32_e32 v0, v0
	s_waitcnt_depctr 0xfff
	v_mul_f32_e32 v0, 0x4f7ffffe, v0
	s_delay_alu instid0(VALU_DEP_1) | instskip(NEXT) | instid1(VALU_DEP_1)
	v_cvt_u32_f32_e32 v0, v0
	v_readfirstlane_b32 s14, v0
	s_delay_alu instid0(VALU_DEP_1) | instskip(NEXT) | instid1(SALU_CYCLE_1)
	s_mul_i32 s15, s15, s14
	s_mul_hi_u32 s15, s14, s15
	s_delay_alu instid0(SALU_CYCLE_1)
	s_add_i32 s14, s14, s15
	s_ashr_i32 s15, s13, 31
	s_mul_hi_u32 s14, s12, s14
	s_xor_b32 s7, s7, s15
	s_mul_i32 s16, s14, s6
	s_add_i32 s15, s14, 1
	s_sub_i32 s12, s12, s16
	s_delay_alu instid0(SALU_CYCLE_1)
	s_sub_i32 s16, s12, s6
	s_cmp_ge_u32 s12, s6
	s_cselect_b32 s14, s15, s14
	s_cselect_b32 s12, s16, s12
	s_add_i32 s15, s14, 1
	s_cmp_ge_u32 s12, s6
	s_cselect_b32 s6, s15, s14
	s_delay_alu instid0(SALU_CYCLE_1) | instskip(NEXT) | instid1(SALU_CYCLE_1)
	s_xor_b32 s6, s6, s7
	s_sub_i32 s6, s6, s7
.LBB5_29:
	ds_load_b32 v1, v14
	s_waitcnt lgkmcnt(0)
	v_and_b32_e32 v0, 0x7f800000, v1
	s_delay_alu instid0(VALU_DEP_1) | instskip(SKIP_1) | instid1(SALU_CYCLE_1)
	v_cmp_ne_u32_e32 vcc_lo, 0x7f800000, v0
                                        ; implicit-def: $vgpr0
	s_and_saveexec_b32 s7, vcc_lo
	s_xor_b32 s7, exec_lo, s7
; %bb.30:
	v_bfe_u32 v0, v1, 16, 1
	s_delay_alu instid0(VALU_DEP_1)
	v_add3_u32 v0, v1, v0, 0x7fff
                                        ; implicit-def: $vgpr1
; %bb.31:
	s_and_not1_saveexec_b32 s7, s7
; %bb.32:
	v_and_b32_e32 v0, 0xffff, v1
	v_or_b32_e32 v2, 0x10000, v1
	s_delay_alu instid0(VALU_DEP_2) | instskip(NEXT) | instid1(VALU_DEP_2)
	v_cmp_eq_u32_e32 vcc_lo, 0, v0
	v_cndmask_b32_e32 v0, v2, v1, vcc_lo
; %bb.33:
	s_or_b32 exec_lo, exec_lo, s7
	ds_load_b32 v2, v14 offset:4
	s_waitcnt lgkmcnt(0)
	v_and_b32_e32 v1, 0x7f800000, v2
	s_delay_alu instid0(VALU_DEP_1) | instskip(SKIP_1) | instid1(SALU_CYCLE_1)
	v_cmp_ne_u32_e32 vcc_lo, 0x7f800000, v1
                                        ; implicit-def: $vgpr1
	s_and_saveexec_b32 s7, vcc_lo
	s_xor_b32 s7, exec_lo, s7
; %bb.34:
	v_bfe_u32 v1, v2, 16, 1
	s_delay_alu instid0(VALU_DEP_1)
	v_add3_u32 v1, v2, v1, 0x7fff
                                        ; implicit-def: $vgpr2
; %bb.35:
	s_and_not1_saveexec_b32 s7, s7
; %bb.36:
	v_and_b32_e32 v1, 0xffff, v2
	v_or_b32_e32 v3, 0x10000, v2
	s_delay_alu instid0(VALU_DEP_2) | instskip(NEXT) | instid1(VALU_DEP_2)
	v_cmp_eq_u32_e32 vcc_lo, 0, v1
	v_cndmask_b32_e32 v1, v3, v2, vcc_lo
; %bb.37:
	s_or_b32 exec_lo, exec_lo, s7
	ds_load_b32 v2, v14 offset:8
	s_mov_b32 s7, exec_lo
                                        ; implicit-def: $vgpr8
	s_waitcnt lgkmcnt(0)
	v_and_b32_e32 v3, 0x7f800000, v2
	s_delay_alu instid0(VALU_DEP_1)
	v_cmpx_ne_u32_e32 0x7f800000, v3
	s_xor_b32 s7, exec_lo, s7
; %bb.38:
	v_bfe_u32 v3, v2, 16, 1
	s_delay_alu instid0(VALU_DEP_1)
	v_add3_u32 v8, v2, v3, 0x7fff
                                        ; implicit-def: $vgpr2
; %bb.39:
	s_and_not1_saveexec_b32 s7, s7
; %bb.40:
	v_and_b32_e32 v3, 0xffff, v2
	v_or_b32_e32 v4, 0x10000, v2
	s_delay_alu instid0(VALU_DEP_2) | instskip(NEXT) | instid1(VALU_DEP_2)
	v_cmp_eq_u32_e32 vcc_lo, 0, v3
	v_cndmask_b32_e32 v8, v4, v2, vcc_lo
; %bb.41:
	s_or_b32 exec_lo, exec_lo, s7
	ds_load_b32 v2, v14 offset:12
	s_mov_b32 s7, exec_lo
                                        ; implicit-def: $vgpr11
	s_waitcnt lgkmcnt(0)
	v_and_b32_e32 v3, 0x7f800000, v2
	s_delay_alu instid0(VALU_DEP_1)
	v_cmpx_ne_u32_e32 0x7f800000, v3
	s_xor_b32 s7, exec_lo, s7
; %bb.42:
	v_bfe_u32 v3, v2, 16, 1
	s_delay_alu instid0(VALU_DEP_1)
	v_add3_u32 v11, v2, v3, 0x7fff
                                        ; implicit-def: $vgpr2
; %bb.43:
	s_and_not1_saveexec_b32 s7, s7
; %bb.44:
	v_and_b32_e32 v3, 0xffff, v2
	v_or_b32_e32 v4, 0x10000, v2
	s_delay_alu instid0(VALU_DEP_2) | instskip(NEXT) | instid1(VALU_DEP_2)
	v_cmp_eq_u32_e32 vcc_lo, 0, v3
	v_cndmask_b32_e32 v11, v4, v2, vcc_lo
; %bb.45:
	s_or_b32 exec_lo, exec_lo, s7
	s_ashr_i32 s7, s6, 31
	s_mul_hi_u32 s12, s2, s6
	s_mul_i32 s7, s2, s7
	s_mul_i32 s14, s3, s6
	s_add_i32 s7, s12, s7
	s_mul_i32 s6, s2, s6
	s_add_i32 s7, s7, s14
	v_and_b32_e32 v8, 0xffff0000, v8
	s_lshl_b64 s[6:7], s[6:7], 1
	v_and_b32_e32 v9, 0xffff0000, v1
	v_add_co_u32 v4, vcc_lo, v6, s6
	v_add_co_ci_u32_e32 v5, vcc_lo, s7, v7, vcc_lo
	v_and_b32_e32 v10, 0xffff0000, v0
	v_and_b32_e32 v11, 0xffff0000, v11
	s_mov_b32 s6, 0
	global_load_b64 v[2:3], v[4:5], off
	s_branch .LBB5_47
.LBB5_46:                               ;   in Loop: Header=BB5_47 Depth=1
	s_or_b32 exec_lo, exec_lo, s7
	v_lshrrev_b32_e32 v1, 16, v1
	s_delay_alu instid0(VALU_DEP_2) | instskip(SKIP_1) | instid1(VALU_DEP_2)
	v_and_b32_e32 v13, 0xffff0000, v15
	v_lshrrev_b32_e32 v0, 16, v0
	v_or_b32_e32 v1, v13, v1
	s_delay_alu instid0(VALU_DEP_2)
	v_and_or_b32 v0, 0xffff0000, v12, v0
	global_atomic_cmpswap_b64 v[0:1], v[4:5], v[0:3], off glc
	s_waitcnt vmcnt(0)
	v_cmp_eq_u64_e32 vcc_lo, v[0:1], v[2:3]
	v_dual_mov_b32 v3, v1 :: v_dual_mov_b32 v2, v0
	s_or_b32 s6, vcc_lo, s6
	s_delay_alu instid0(SALU_CYCLE_1)
	s_and_not1_b32 exec_lo, exec_lo, s6
	s_cbranch_execz .LBB5_63
.LBB5_47:                               ; =>This Inner Loop Header: Depth=1
	s_waitcnt vmcnt(0)
	v_lshlrev_b32_e32 v0, 16, v2
	s_delay_alu instid0(VALU_DEP_1) | instskip(NEXT) | instid1(VALU_DEP_1)
	v_add_f32_e32 v1, v10, v0
	v_and_b32_e32 v0, 0x7f800000, v1
	s_delay_alu instid0(VALU_DEP_1) | instskip(SKIP_1) | instid1(SALU_CYCLE_1)
	v_cmp_ne_u32_e32 vcc_lo, 0x7f800000, v0
                                        ; implicit-def: $vgpr0
	s_and_saveexec_b32 s7, vcc_lo
	s_xor_b32 s7, exec_lo, s7
; %bb.48:                               ;   in Loop: Header=BB5_47 Depth=1
	v_bfe_u32 v0, v1, 16, 1
	s_delay_alu instid0(VALU_DEP_1)
	v_add3_u32 v0, v1, v0, 0x7fff
                                        ; implicit-def: $vgpr1
; %bb.49:                               ;   in Loop: Header=BB5_47 Depth=1
	s_and_not1_saveexec_b32 s7, s7
; %bb.50:                               ;   in Loop: Header=BB5_47 Depth=1
	v_and_b32_e32 v0, 0xffff, v1
	v_or_b32_e32 v12, 0x10000, v1
	s_delay_alu instid0(VALU_DEP_2) | instskip(NEXT) | instid1(VALU_DEP_2)
	v_cmp_eq_u32_e32 vcc_lo, 0, v0
	v_cndmask_b32_e32 v0, v12, v1, vcc_lo
; %bb.51:                               ;   in Loop: Header=BB5_47 Depth=1
	s_or_b32 exec_lo, exec_lo, s7
	v_and_b32_e32 v1, 0xffff0000, v2
	s_delay_alu instid0(VALU_DEP_1) | instskip(NEXT) | instid1(VALU_DEP_1)
	v_add_f32_e32 v1, v9, v1
	v_and_b32_e32 v12, 0x7f800000, v1
	s_delay_alu instid0(VALU_DEP_1) | instskip(SKIP_1) | instid1(SALU_CYCLE_1)
	v_cmp_ne_u32_e32 vcc_lo, 0x7f800000, v12
                                        ; implicit-def: $vgpr12
	s_and_saveexec_b32 s7, vcc_lo
	s_xor_b32 s7, exec_lo, s7
; %bb.52:                               ;   in Loop: Header=BB5_47 Depth=1
	v_bfe_u32 v12, v1, 16, 1
	s_delay_alu instid0(VALU_DEP_1)
	v_add3_u32 v12, v1, v12, 0x7fff
                                        ; implicit-def: $vgpr1
; %bb.53:                               ;   in Loop: Header=BB5_47 Depth=1
	s_and_not1_saveexec_b32 s7, s7
; %bb.54:                               ;   in Loop: Header=BB5_47 Depth=1
	v_and_b32_e32 v12, 0xffff, v1
	v_or_b32_e32 v13, 0x10000, v1
	s_delay_alu instid0(VALU_DEP_2) | instskip(NEXT) | instid1(VALU_DEP_2)
	v_cmp_eq_u32_e32 vcc_lo, 0, v12
	v_cndmask_b32_e32 v12, v13, v1, vcc_lo
; %bb.55:                               ;   in Loop: Header=BB5_47 Depth=1
	s_or_b32 exec_lo, exec_lo, s7
	v_alignbit_b32 v1, v3, v2, 16
	s_delay_alu instid0(VALU_DEP_1) | instskip(NEXT) | instid1(VALU_DEP_1)
	v_and_b32_e32 v1, 0xffff0000, v1
	v_add_f32_e32 v13, v8, v1
	s_delay_alu instid0(VALU_DEP_1) | instskip(NEXT) | instid1(VALU_DEP_1)
	v_and_b32_e32 v1, 0x7f800000, v13
	v_cmp_ne_u32_e32 vcc_lo, 0x7f800000, v1
                                        ; implicit-def: $vgpr1
	s_and_saveexec_b32 s7, vcc_lo
	s_delay_alu instid0(SALU_CYCLE_1)
	s_xor_b32 s7, exec_lo, s7
; %bb.56:                               ;   in Loop: Header=BB5_47 Depth=1
	v_bfe_u32 v1, v13, 16, 1
	s_delay_alu instid0(VALU_DEP_1)
	v_add3_u32 v1, v13, v1, 0x7fff
                                        ; implicit-def: $vgpr13
; %bb.57:                               ;   in Loop: Header=BB5_47 Depth=1
	s_and_not1_saveexec_b32 s7, s7
; %bb.58:                               ;   in Loop: Header=BB5_47 Depth=1
	v_and_b32_e32 v1, 0xffff, v13
	v_or_b32_e32 v15, 0x10000, v13
	s_delay_alu instid0(VALU_DEP_2) | instskip(NEXT) | instid1(VALU_DEP_2)
	v_cmp_eq_u32_e32 vcc_lo, 0, v1
	v_cndmask_b32_e32 v1, v15, v13, vcc_lo
; %bb.59:                               ;   in Loop: Header=BB5_47 Depth=1
	s_or_b32 exec_lo, exec_lo, s7
	v_and_b32_e32 v13, 0xffff0000, v3
	s_delay_alu instid0(VALU_DEP_1) | instskip(NEXT) | instid1(VALU_DEP_1)
	v_add_f32_e32 v13, v11, v13
	v_and_b32_e32 v15, 0x7f800000, v13
	s_delay_alu instid0(VALU_DEP_1) | instskip(SKIP_1) | instid1(SALU_CYCLE_1)
	v_cmp_ne_u32_e32 vcc_lo, 0x7f800000, v15
                                        ; implicit-def: $vgpr15
	s_and_saveexec_b32 s7, vcc_lo
	s_xor_b32 s7, exec_lo, s7
; %bb.60:                               ;   in Loop: Header=BB5_47 Depth=1
	v_bfe_u32 v15, v13, 16, 1
	s_delay_alu instid0(VALU_DEP_1)
	v_add3_u32 v15, v13, v15, 0x7fff
                                        ; implicit-def: $vgpr13
; %bb.61:                               ;   in Loop: Header=BB5_47 Depth=1
	s_and_not1_saveexec_b32 s7, s7
	s_cbranch_execz .LBB5_46
; %bb.62:                               ;   in Loop: Header=BB5_47 Depth=1
	v_and_b32_e32 v15, 0xffff, v13
	v_or_b32_e32 v16, 0x10000, v13
	s_delay_alu instid0(VALU_DEP_2) | instskip(NEXT) | instid1(VALU_DEP_2)
	v_cmp_eq_u32_e32 vcc_lo, 0, v15
	v_cndmask_b32_e32 v15, v16, v13, vcc_lo
	s_branch .LBB5_46
.LBB5_63:
	s_or_b32 exec_lo, exec_lo, s6
.LBB5_64:
	s_load_b32 s0, s[0:1], 0x4
	s_waitcnt lgkmcnt(0)
	s_abs_i32 s6, s0
	s_ashr_i32 s1, s0, 31
	s_mul_hi_u32 s7, s6, s11
	s_xor_b32 s8, s1, s8
	s_mul_i32 s11, s7, s10
	s_add_i32 s12, s7, 1
	s_sub_i32 s11, s6, s11
	s_delay_alu instid0(SALU_CYCLE_1)
	s_sub_i32 s14, s11, s10
	s_cmp_ge_u32 s11, s10
	s_cselect_b32 s7, s12, s7
	s_cselect_b32 s11, s14, s11
	s_add_i32 s12, s7, 1
	s_cmp_ge_u32 s11, s10
	s_cselect_b32 s7, s12, s7
	s_delay_alu instid0(SALU_CYCLE_1) | instskip(NEXT) | instid1(SALU_CYCLE_1)
	s_xor_b32 s7, s7, s8
	s_sub_i32 s7, s7, s8
	s_delay_alu instid0(SALU_CYCLE_1)
	s_cmp_ge_i32 s7, s4
	s_cbranch_scc1 .LBB5_103
; %bb.65:
	s_and_not1_b32 vcc_lo, exec_lo, s9
	s_cbranch_vccnz .LBB5_67
; %bb.66:
	s_lshl_b64 s[8:9], s[0:1], 2
	ds_load_b128 v[0:3], v14 offset:16
	s_add_u32 s8, s24, s8
	s_addc_u32 s9, s25, s9
	s_load_b32 s4, s[8:9], 0x0
	s_waitcnt lgkmcnt(0)
	v_dual_mul_f32 v0, s4, v0 :: v_dual_mul_f32 v1, s4, v1
	v_dual_mul_f32 v2, s4, v2 :: v_dual_mul_f32 v3, s4, v3
	ds_store_b128 v14, v[0:3] offset:16
.LBB5_67:
	s_and_not1_b32 vcc_lo, exec_lo, s5
	s_cbranch_vccnz .LBB5_69
; %bb.68:
	s_abs_i32 s0, s13
	s_delay_alu instid0(SALU_CYCLE_1) | instskip(SKIP_1) | instid1(VALU_DEP_1)
	v_cvt_f32_u32_e32 v0, s0
	s_sub_i32 s5, 0, s0
	v_rcp_iflag_f32_e32 v0, v0
	s_waitcnt_depctr 0xfff
	v_mul_f32_e32 v0, 0x4f7ffffe, v0
	s_delay_alu instid0(VALU_DEP_1) | instskip(NEXT) | instid1(VALU_DEP_1)
	v_cvt_u32_f32_e32 v0, v0
	v_readfirstlane_b32 s4, v0
	s_delay_alu instid0(VALU_DEP_1) | instskip(NEXT) | instid1(SALU_CYCLE_1)
	s_mul_i32 s5, s5, s4
	s_mul_hi_u32 s5, s4, s5
	s_delay_alu instid0(SALU_CYCLE_1) | instskip(SKIP_4) | instid1(SALU_CYCLE_1)
	s_add_i32 s4, s4, s5
	s_ashr_i32 s5, s13, 31
	s_mul_hi_u32 s4, s6, s4
	s_xor_b32 s1, s1, s5
	s_mul_i32 s7, s4, s0
	s_sub_i32 s5, s6, s7
	s_add_i32 s6, s4, 1
	s_sub_i32 s7, s5, s0
	s_cmp_ge_u32 s5, s0
	s_cselect_b32 s4, s6, s4
	s_cselect_b32 s5, s7, s5
	s_add_i32 s6, s4, 1
	s_cmp_ge_u32 s5, s0
	s_cselect_b32 s0, s6, s4
	s_delay_alu instid0(SALU_CYCLE_1) | instskip(NEXT) | instid1(SALU_CYCLE_1)
	s_xor_b32 s0, s0, s1
	s_sub_i32 s0, s0, s1
.LBB5_69:
	ds_load_b32 v1, v14 offset:16
	s_waitcnt lgkmcnt(0)
	v_and_b32_e32 v0, 0x7f800000, v1
	s_delay_alu instid0(VALU_DEP_1) | instskip(SKIP_1) | instid1(SALU_CYCLE_1)
	v_cmp_ne_u32_e32 vcc_lo, 0x7f800000, v0
                                        ; implicit-def: $vgpr0
	s_and_saveexec_b32 s1, vcc_lo
	s_xor_b32 s1, exec_lo, s1
; %bb.70:
	v_bfe_u32 v0, v1, 16, 1
	s_delay_alu instid0(VALU_DEP_1)
	v_add3_u32 v0, v1, v0, 0x7fff
                                        ; implicit-def: $vgpr1
; %bb.71:
	s_and_not1_saveexec_b32 s1, s1
; %bb.72:
	v_and_b32_e32 v0, 0xffff, v1
	v_or_b32_e32 v2, 0x10000, v1
	s_delay_alu instid0(VALU_DEP_2) | instskip(NEXT) | instid1(VALU_DEP_2)
	v_cmp_eq_u32_e32 vcc_lo, 0, v0
	v_cndmask_b32_e32 v0, v2, v1, vcc_lo
; %bb.73:
	s_or_b32 exec_lo, exec_lo, s1
	ds_load_b32 v2, v14 offset:20
	s_waitcnt lgkmcnt(0)
	v_and_b32_e32 v1, 0x7f800000, v2
	s_delay_alu instid0(VALU_DEP_1) | instskip(SKIP_1) | instid1(SALU_CYCLE_1)
	v_cmp_ne_u32_e32 vcc_lo, 0x7f800000, v1
                                        ; implicit-def: $vgpr1
	s_and_saveexec_b32 s1, vcc_lo
	s_xor_b32 s1, exec_lo, s1
; %bb.74:
	v_bfe_u32 v1, v2, 16, 1
	s_delay_alu instid0(VALU_DEP_1)
	v_add3_u32 v1, v2, v1, 0x7fff
                                        ; implicit-def: $vgpr2
; %bb.75:
	s_and_not1_saveexec_b32 s1, s1
; %bb.76:
	v_and_b32_e32 v1, 0xffff, v2
	v_or_b32_e32 v3, 0x10000, v2
	s_delay_alu instid0(VALU_DEP_2) | instskip(NEXT) | instid1(VALU_DEP_2)
	v_cmp_eq_u32_e32 vcc_lo, 0, v1
	v_cndmask_b32_e32 v1, v3, v2, vcc_lo
; %bb.77:
	s_or_b32 exec_lo, exec_lo, s1
	ds_load_b32 v2, v14 offset:24
	s_mov_b32 s1, exec_lo
                                        ; implicit-def: $vgpr8
	s_waitcnt lgkmcnt(0)
	v_and_b32_e32 v3, 0x7f800000, v2
	s_delay_alu instid0(VALU_DEP_1)
	v_cmpx_ne_u32_e32 0x7f800000, v3
	s_xor_b32 s1, exec_lo, s1
; %bb.78:
	v_bfe_u32 v3, v2, 16, 1
	s_delay_alu instid0(VALU_DEP_1)
	v_add3_u32 v8, v2, v3, 0x7fff
                                        ; implicit-def: $vgpr2
; %bb.79:
	s_and_not1_saveexec_b32 s1, s1
; %bb.80:
	v_and_b32_e32 v3, 0xffff, v2
	v_or_b32_e32 v4, 0x10000, v2
	s_delay_alu instid0(VALU_DEP_2) | instskip(NEXT) | instid1(VALU_DEP_2)
	v_cmp_eq_u32_e32 vcc_lo, 0, v3
	v_cndmask_b32_e32 v8, v4, v2, vcc_lo
; %bb.81:
	s_or_b32 exec_lo, exec_lo, s1
	ds_load_b32 v2, v14 offset:28
	s_mov_b32 s1, exec_lo
                                        ; implicit-def: $vgpr9
	s_waitcnt lgkmcnt(0)
	v_and_b32_e32 v3, 0x7f800000, v2
	s_delay_alu instid0(VALU_DEP_1)
	v_cmpx_ne_u32_e32 0x7f800000, v3
	s_xor_b32 s1, exec_lo, s1
; %bb.82:
	v_bfe_u32 v3, v2, 16, 1
	s_delay_alu instid0(VALU_DEP_1)
	v_add3_u32 v9, v2, v3, 0x7fff
                                        ; implicit-def: $vgpr2
; %bb.83:
	s_and_not1_saveexec_b32 s1, s1
; %bb.84:
	v_and_b32_e32 v3, 0xffff, v2
	v_or_b32_e32 v4, 0x10000, v2
	s_delay_alu instid0(VALU_DEP_2) | instskip(NEXT) | instid1(VALU_DEP_2)
	v_cmp_eq_u32_e32 vcc_lo, 0, v3
	v_cndmask_b32_e32 v9, v4, v2, vcc_lo
; %bb.85:
	s_or_b32 exec_lo, exec_lo, s1
	s_ashr_i32 s1, s0, 31
	s_mul_hi_u32 s4, s2, s0
	s_mul_i32 s1, s2, s1
	s_mul_i32 s3, s3, s0
	s_add_i32 s1, s4, s1
	s_mul_i32 s0, s2, s0
	s_add_i32 s1, s1, s3
	v_and_b32_e32 v9, 0xffff0000, v9
	s_lshl_b64 s[0:1], s[0:1], 1
	s_delay_alu instid0(SALU_CYCLE_1)
	v_add_co_u32 v4, vcc_lo, v6, s0
	v_add_co_ci_u32_e32 v5, vcc_lo, s1, v7, vcc_lo
	v_and_b32_e32 v6, 0xffff0000, v8
	v_and_b32_e32 v7, 0xffff0000, v1
	;; [unrolled: 1-line block ×3, first 2 shown]
	global_load_b64 v[2:3], v[4:5], off
	s_mov_b32 s0, 0
	s_branch .LBB5_87
.LBB5_86:                               ;   in Loop: Header=BB5_87 Depth=1
	s_or_b32 exec_lo, exec_lo, s1
	v_lshrrev_b32_e32 v1, 16, v1
	s_delay_alu instid0(VALU_DEP_2) | instskip(SKIP_1) | instid1(VALU_DEP_2)
	v_and_b32_e32 v11, 0xffff0000, v12
	v_lshrrev_b32_e32 v0, 16, v0
	v_or_b32_e32 v1, v11, v1
	s_delay_alu instid0(VALU_DEP_2)
	v_and_or_b32 v0, 0xffff0000, v10, v0
	global_atomic_cmpswap_b64 v[0:1], v[4:5], v[0:3], off glc
	s_waitcnt vmcnt(0)
	v_cmp_eq_u64_e32 vcc_lo, v[0:1], v[2:3]
	v_dual_mov_b32 v3, v1 :: v_dual_mov_b32 v2, v0
	s_or_b32 s0, vcc_lo, s0
	s_delay_alu instid0(SALU_CYCLE_1)
	s_and_not1_b32 exec_lo, exec_lo, s0
	s_cbranch_execz .LBB5_103
.LBB5_87:                               ; =>This Inner Loop Header: Depth=1
	s_waitcnt vmcnt(0)
	v_lshlrev_b32_e32 v0, 16, v2
	s_delay_alu instid0(VALU_DEP_1) | instskip(NEXT) | instid1(VALU_DEP_1)
	v_add_f32_e32 v1, v8, v0
	v_and_b32_e32 v0, 0x7f800000, v1
	s_delay_alu instid0(VALU_DEP_1) | instskip(SKIP_1) | instid1(SALU_CYCLE_1)
	v_cmp_ne_u32_e32 vcc_lo, 0x7f800000, v0
                                        ; implicit-def: $vgpr0
	s_and_saveexec_b32 s1, vcc_lo
	s_xor_b32 s1, exec_lo, s1
; %bb.88:                               ;   in Loop: Header=BB5_87 Depth=1
	v_bfe_u32 v0, v1, 16, 1
	s_delay_alu instid0(VALU_DEP_1)
	v_add3_u32 v0, v1, v0, 0x7fff
                                        ; implicit-def: $vgpr1
; %bb.89:                               ;   in Loop: Header=BB5_87 Depth=1
	s_and_not1_saveexec_b32 s1, s1
; %bb.90:                               ;   in Loop: Header=BB5_87 Depth=1
	v_and_b32_e32 v0, 0xffff, v1
	v_or_b32_e32 v10, 0x10000, v1
	s_delay_alu instid0(VALU_DEP_2) | instskip(NEXT) | instid1(VALU_DEP_2)
	v_cmp_eq_u32_e32 vcc_lo, 0, v0
	v_cndmask_b32_e32 v0, v10, v1, vcc_lo
; %bb.91:                               ;   in Loop: Header=BB5_87 Depth=1
	s_or_b32 exec_lo, exec_lo, s1
	v_and_b32_e32 v1, 0xffff0000, v2
	s_delay_alu instid0(VALU_DEP_1) | instskip(NEXT) | instid1(VALU_DEP_1)
	v_add_f32_e32 v1, v7, v1
	v_and_b32_e32 v10, 0x7f800000, v1
	s_delay_alu instid0(VALU_DEP_1) | instskip(SKIP_1) | instid1(SALU_CYCLE_1)
	v_cmp_ne_u32_e32 vcc_lo, 0x7f800000, v10
                                        ; implicit-def: $vgpr10
	s_and_saveexec_b32 s1, vcc_lo
	s_xor_b32 s1, exec_lo, s1
; %bb.92:                               ;   in Loop: Header=BB5_87 Depth=1
	v_bfe_u32 v10, v1, 16, 1
	s_delay_alu instid0(VALU_DEP_1)
	v_add3_u32 v10, v1, v10, 0x7fff
                                        ; implicit-def: $vgpr1
; %bb.93:                               ;   in Loop: Header=BB5_87 Depth=1
	s_and_not1_saveexec_b32 s1, s1
; %bb.94:                               ;   in Loop: Header=BB5_87 Depth=1
	v_and_b32_e32 v10, 0xffff, v1
	v_or_b32_e32 v11, 0x10000, v1
	s_delay_alu instid0(VALU_DEP_2) | instskip(NEXT) | instid1(VALU_DEP_2)
	v_cmp_eq_u32_e32 vcc_lo, 0, v10
	v_cndmask_b32_e32 v10, v11, v1, vcc_lo
; %bb.95:                               ;   in Loop: Header=BB5_87 Depth=1
	s_or_b32 exec_lo, exec_lo, s1
	v_alignbit_b32 v1, v3, v2, 16
	s_delay_alu instid0(VALU_DEP_1) | instskip(NEXT) | instid1(VALU_DEP_1)
	v_and_b32_e32 v1, 0xffff0000, v1
	v_add_f32_e32 v11, v6, v1
	s_delay_alu instid0(VALU_DEP_1) | instskip(NEXT) | instid1(VALU_DEP_1)
	v_and_b32_e32 v1, 0x7f800000, v11
	v_cmp_ne_u32_e32 vcc_lo, 0x7f800000, v1
                                        ; implicit-def: $vgpr1
	s_and_saveexec_b32 s1, vcc_lo
	s_delay_alu instid0(SALU_CYCLE_1)
	s_xor_b32 s1, exec_lo, s1
; %bb.96:                               ;   in Loop: Header=BB5_87 Depth=1
	v_bfe_u32 v1, v11, 16, 1
	s_delay_alu instid0(VALU_DEP_1)
	v_add3_u32 v1, v11, v1, 0x7fff
                                        ; implicit-def: $vgpr11
; %bb.97:                               ;   in Loop: Header=BB5_87 Depth=1
	s_and_not1_saveexec_b32 s1, s1
; %bb.98:                               ;   in Loop: Header=BB5_87 Depth=1
	v_and_b32_e32 v1, 0xffff, v11
	v_or_b32_e32 v12, 0x10000, v11
	s_delay_alu instid0(VALU_DEP_2) | instskip(NEXT) | instid1(VALU_DEP_2)
	v_cmp_eq_u32_e32 vcc_lo, 0, v1
	v_cndmask_b32_e32 v1, v12, v11, vcc_lo
; %bb.99:                               ;   in Loop: Header=BB5_87 Depth=1
	s_or_b32 exec_lo, exec_lo, s1
	v_and_b32_e32 v11, 0xffff0000, v3
	s_delay_alu instid0(VALU_DEP_1) | instskip(NEXT) | instid1(VALU_DEP_1)
	v_add_f32_e32 v11, v9, v11
	v_and_b32_e32 v12, 0x7f800000, v11
	s_delay_alu instid0(VALU_DEP_1) | instskip(SKIP_1) | instid1(SALU_CYCLE_1)
	v_cmp_ne_u32_e32 vcc_lo, 0x7f800000, v12
                                        ; implicit-def: $vgpr12
	s_and_saveexec_b32 s1, vcc_lo
	s_xor_b32 s1, exec_lo, s1
; %bb.100:                              ;   in Loop: Header=BB5_87 Depth=1
	v_bfe_u32 v12, v11, 16, 1
	s_delay_alu instid0(VALU_DEP_1)
	v_add3_u32 v12, v11, v12, 0x7fff
                                        ; implicit-def: $vgpr11
; %bb.101:                              ;   in Loop: Header=BB5_87 Depth=1
	s_and_not1_saveexec_b32 s1, s1
	s_cbranch_execz .LBB5_86
; %bb.102:                              ;   in Loop: Header=BB5_87 Depth=1
	v_and_b32_e32 v12, 0xffff, v11
	v_or_b32_e32 v13, 0x10000, v11
	s_delay_alu instid0(VALU_DEP_2) | instskip(NEXT) | instid1(VALU_DEP_2)
	v_cmp_eq_u32_e32 vcc_lo, 0, v12
	v_cndmask_b32_e32 v12, v13, v11, vcc_lo
	s_branch .LBB5_86
.LBB5_103:
	s_endpgm
	.section	.rodata,"a",@progbits
	.p2align	6, 0x0
	.amdhsa_kernel _ZN4vllm14moe_gptq_rdna324moe_gemm_q4_kernel_rdna3I14__hip_bfloat16Li2EEEvPKT_PS3_PKjS5_S8_PKfPKiSC_SC_iiiiiiiibi
		.amdhsa_group_segment_fixed_size 50208
		.amdhsa_private_segment_fixed_size 0
		.amdhsa_kernarg_size 112
		.amdhsa_user_sgpr_count 13
		.amdhsa_user_sgpr_dispatch_ptr 1
		.amdhsa_user_sgpr_queue_ptr 0
		.amdhsa_user_sgpr_kernarg_segment_ptr 1
		.amdhsa_user_sgpr_dispatch_id 0
		.amdhsa_user_sgpr_private_segment_size 0
		.amdhsa_wavefront_size32 1
		.amdhsa_uses_dynamic_stack 0
		.amdhsa_enable_private_segment 0
		.amdhsa_system_sgpr_workgroup_id_x 1
		.amdhsa_system_sgpr_workgroup_id_y 1
		.amdhsa_system_sgpr_workgroup_id_z 1
		.amdhsa_system_sgpr_workgroup_info 0
		.amdhsa_system_vgpr_workitem_id 2
		.amdhsa_next_free_vgpr 42
		.amdhsa_next_free_sgpr 43
		.amdhsa_reserve_vcc 1
		.amdhsa_float_round_mode_32 0
		.amdhsa_float_round_mode_16_64 0
		.amdhsa_float_denorm_mode_32 3
		.amdhsa_float_denorm_mode_16_64 3
		.amdhsa_dx10_clamp 1
		.amdhsa_ieee_mode 1
		.amdhsa_fp16_overflow 0
		.amdhsa_workgroup_processor_mode 1
		.amdhsa_memory_ordered 1
		.amdhsa_forward_progress 0
		.amdhsa_shared_vgpr_count 0
		.amdhsa_exception_fp_ieee_invalid_op 0
		.amdhsa_exception_fp_denorm_src 0
		.amdhsa_exception_fp_ieee_div_zero 0
		.amdhsa_exception_fp_ieee_overflow 0
		.amdhsa_exception_fp_ieee_underflow 0
		.amdhsa_exception_fp_ieee_inexact 0
		.amdhsa_exception_int_div_zero 0
	.end_amdhsa_kernel
	.section	.text._ZN4vllm14moe_gptq_rdna324moe_gemm_q4_kernel_rdna3I14__hip_bfloat16Li2EEEvPKT_PS3_PKjS5_S8_PKfPKiSC_SC_iiiiiiiibi,"axG",@progbits,_ZN4vllm14moe_gptq_rdna324moe_gemm_q4_kernel_rdna3I14__hip_bfloat16Li2EEEvPKT_PS3_PKjS5_S8_PKfPKiSC_SC_iiiiiiiibi,comdat
.Lfunc_end5:
	.size	_ZN4vllm14moe_gptq_rdna324moe_gemm_q4_kernel_rdna3I14__hip_bfloat16Li2EEEvPKT_PS3_PKjS5_S8_PKfPKiSC_SC_iiiiiiiibi, .Lfunc_end5-_ZN4vllm14moe_gptq_rdna324moe_gemm_q4_kernel_rdna3I14__hip_bfloat16Li2EEEvPKT_PS3_PKjS5_S8_PKfPKiSC_SC_iiiiiiiibi
                                        ; -- End function
	.section	.AMDGPU.csdata,"",@progbits
; Kernel info:
; codeLenInByte = 6432
; NumSgprs: 45
; NumVgprs: 42
; ScratchSize: 0
; MemoryBound: 0
; FloatMode: 240
; IeeeMode: 1
; LDSByteSize: 50208 bytes/workgroup (compile time only)
; SGPRBlocks: 5
; VGPRBlocks: 5
; NumSGPRsForWavesPerEU: 45
; NumVGPRsForWavesPerEU: 42
; Occupancy: 16
; WaveLimiterHint : 1
; COMPUTE_PGM_RSRC2:SCRATCH_EN: 0
; COMPUTE_PGM_RSRC2:USER_SGPR: 13
; COMPUTE_PGM_RSRC2:TRAP_HANDLER: 0
; COMPUTE_PGM_RSRC2:TGID_X_EN: 1
; COMPUTE_PGM_RSRC2:TGID_Y_EN: 1
; COMPUTE_PGM_RSRC2:TGID_Z_EN: 1
; COMPUTE_PGM_RSRC2:TIDIG_COMP_CNT: 2
	.section	.text._ZN4vllm14moe_gptq_rdna324moe_gemm_q4_kernel_rdna3I14__hip_bfloat16Li4EEEvPKT_PS3_PKjS5_S8_PKfPKiSC_SC_iiiiiiiibi,"axG",@progbits,_ZN4vllm14moe_gptq_rdna324moe_gemm_q4_kernel_rdna3I14__hip_bfloat16Li4EEEvPKT_PS3_PKjS5_S8_PKfPKiSC_SC_iiiiiiiibi,comdat
	.protected	_ZN4vllm14moe_gptq_rdna324moe_gemm_q4_kernel_rdna3I14__hip_bfloat16Li4EEEvPKT_PS3_PKjS5_S8_PKfPKiSC_SC_iiiiiiiibi ; -- Begin function _ZN4vllm14moe_gptq_rdna324moe_gemm_q4_kernel_rdna3I14__hip_bfloat16Li4EEEvPKT_PS3_PKjS5_S8_PKfPKiSC_SC_iiiiiiiibi
	.globl	_ZN4vllm14moe_gptq_rdna324moe_gemm_q4_kernel_rdna3I14__hip_bfloat16Li4EEEvPKT_PS3_PKjS5_S8_PKfPKiSC_SC_iiiiiiiibi
	.p2align	8
	.type	_ZN4vllm14moe_gptq_rdna324moe_gemm_q4_kernel_rdna3I14__hip_bfloat16Li4EEEvPKT_PS3_PKjS5_S8_PKfPKiSC_SC_iiiiiiiibi,@function
_ZN4vllm14moe_gptq_rdna324moe_gemm_q4_kernel_rdna3I14__hip_bfloat16Li4EEEvPKT_PS3_PKjS5_S8_PKfPKiSC_SC_iiiiiiiibi: ; @_ZN4vllm14moe_gptq_rdna324moe_gemm_q4_kernel_rdna3I14__hip_bfloat16Li4EEEvPKT_PS3_PKjS5_S8_PKfPKiSC_SC_iiiiiiiibi
; %bb.0:
	s_load_b64 s[6:7], s[2:3], 0x40
	s_lshl_b32 s30, s13, 2
	s_waitcnt lgkmcnt(0)
	s_load_b32 s5, s[6:7], 0x0
	s_waitcnt lgkmcnt(0)
	s_cmp_ge_i32 s30, s5
	s_cbranch_scc1 .LBB6_187
; %bb.1:
	s_load_b64 s[6:7], s[2:3], 0x38
	s_mov_b32 s4, s13
	s_ashr_i32 s5, s13, 31
	s_delay_alu instid0(SALU_CYCLE_1)
	s_lshl_b64 s[4:5], s[4:5], 2
	s_waitcnt lgkmcnt(0)
	s_add_u32 s4, s6, s4
	s_addc_u32 s5, s7, s5
	s_load_b32 s36, s[4:5], 0x0
	s_waitcnt lgkmcnt(0)
	s_cmp_eq_u32 s36, -1
	s_cbranch_scc1 .LBB6_187
; %bb.2:
	s_clause 0x3
	s_load_b256 s[4:11], s[2:3], 0x48
	s_load_b256 s[16:23], s[2:3], 0x8
	s_load_b128 s[24:27], s[2:3], 0x28
	s_load_b64 s[28:29], s[2:3], 0x68
	v_and_b32_e32 v3, 0x3ff, v0
	s_lshl_b32 s34, s15, 8
	s_delay_alu instid0(SALU_CYCLE_1) | instskip(NEXT) | instid1(VALU_DEP_1)
	s_add_i32 s12, s34, 0x100
	v_add_nc_u32_e32 v1, s34, v3
	s_waitcnt lgkmcnt(0)
	s_min_i32 s33, s12, s6
	s_mov_b32 s12, exec_lo
	s_delay_alu instid0(VALU_DEP_1)
	v_cmpx_gt_i32_e64 s33, v1
	s_cbranch_execz .LBB6_12
; %bb.3:
	s_load_b64 s[2:3], s[2:3], 0x0
	s_ashr_i32 s35, s34, 31
	v_mov_b32_e32 v5, 0
	s_lshl_b64 s[38:39], s[34:35], 1
	v_mov_b32_e32 v6, 0
	s_waitcnt lgkmcnt(0)
	s_add_u32 s35, s2, s38
	s_addc_u32 s37, s3, s39
	s_ashr_i32 s31, s30, 31
	s_delay_alu instid0(SALU_CYCLE_1) | instskip(NEXT) | instid1(SALU_CYCLE_1)
	s_lshl_b64 s[2:3], s[30:31], 2
	s_add_u32 s2, s26, s2
	s_addc_u32 s3, s27, s3
	s_abs_i32 s13, s8
	s_load_b32 s38, s[2:3], 0x0
	v_cvt_f32_u32_e32 v1, s13
	s_sub_i32 s15, 0, s13
	s_delay_alu instid0(VALU_DEP_1) | instskip(SKIP_4) | instid1(VALU_DEP_1)
	v_rcp_iflag_f32_e32 v1, v1
	s_waitcnt_depctr 0xfff
	v_mul_f32_e32 v1, 0x4f7ffffe, v1
	s_waitcnt lgkmcnt(0)
	s_abs_i32 s39, s38
	v_cvt_u32_f32_e32 v1, v1
	s_ashr_i32 s38, s38, 31
	s_delay_alu instid0(VALU_DEP_1) | instskip(SKIP_1) | instid1(VALU_DEP_2)
	v_readfirstlane_b32 s31, v1
	v_lshlrev_b32_e32 v1, 1, v3
	s_mul_i32 s15, s15, s31
	s_delay_alu instid0(VALU_DEP_1)
	v_add_co_u32 v2, s35, s35, v1
	s_mul_hi_u32 s15, s31, s15
	v_add_co_ci_u32_e64 v4, null, s37, 0, s35
	s_add_i32 s31, s31, s15
	s_ashr_i32 s15, s8, 31
	s_mul_hi_u32 s40, s39, s31
	s_xor_b32 s38, s38, s15
	s_mul_i32 s41, s40, s13
	s_delay_alu instid0(SALU_CYCLE_1)
	s_sub_i32 s39, s39, s41
	s_add_i32 s41, s40, 1
	s_sub_i32 s42, s39, s13
	s_cmp_ge_u32 s39, s13
	s_cselect_b32 s40, s41, s40
	s_cselect_b32 s39, s42, s39
	s_add_i32 s41, s40, 1
	s_cmp_ge_u32 s39, s13
	s_cselect_b32 s39, s41, s40
	s_delay_alu instid0(SALU_CYCLE_1) | instskip(NEXT) | instid1(SALU_CYCLE_1)
	s_xor_b32 s39, s39, s38
	s_sub_i32 s35, s39, s38
	s_delay_alu instid0(SALU_CYCLE_1)
	s_cmp_ge_i32 s35, s4
	s_cbranch_scc1 .LBB6_5
; %bb.4:
	s_mul_hi_i32 s39, s35, s6
	s_mul_i32 s38, s35, s6
	s_delay_alu instid0(SALU_CYCLE_1) | instskip(NEXT) | instid1(SALU_CYCLE_1)
	s_lshl_b64 s[38:39], s[38:39], 1
	v_add_co_u32 v6, vcc_lo, v2, s38
	v_add_co_ci_u32_e32 v7, vcc_lo, s39, v4, vcc_lo
	global_load_u16 v6, v[6:7], off
.LBB6_5:
	s_load_b32 s35, s[2:3], 0x4
	s_waitcnt vmcnt(0)
	ds_store_b16 v1, v6
	s_waitcnt lgkmcnt(0)
	s_abs_i32 s37, s35
	s_ashr_i32 s35, s35, 31
	s_mul_hi_u32 s38, s37, s31
	s_xor_b32 s35, s35, s15
	s_mul_i32 s39, s38, s13
	s_delay_alu instid0(SALU_CYCLE_1)
	s_sub_i32 s37, s37, s39
	s_add_i32 s39, s38, 1
	s_sub_i32 s40, s37, s13
	s_cmp_ge_u32 s37, s13
	s_cselect_b32 s38, s39, s38
	s_cselect_b32 s37, s40, s37
	s_add_i32 s39, s38, 1
	s_cmp_ge_u32 s37, s13
	s_cselect_b32 s37, s39, s38
	s_delay_alu instid0(SALU_CYCLE_1) | instskip(NEXT) | instid1(SALU_CYCLE_1)
	s_xor_b32 s37, s37, s35
	s_sub_i32 s35, s37, s35
	s_delay_alu instid0(SALU_CYCLE_1)
	s_cmp_ge_i32 s35, s4
	s_cbranch_scc1 .LBB6_7
; %bb.6:
	s_mul_hi_i32 s39, s35, s6
	s_mul_i32 s38, s35, s6
	s_delay_alu instid0(SALU_CYCLE_1) | instskip(NEXT) | instid1(SALU_CYCLE_1)
	s_lshl_b64 s[38:39], s[38:39], 1
	v_add_co_u32 v5, vcc_lo, v2, s38
	v_add_co_ci_u32_e32 v6, vcc_lo, s39, v4, vcc_lo
	global_load_u16 v5, v[5:6], off
.LBB6_7:
	s_load_b32 s35, s[2:3], 0x8
	v_dual_mov_b32 v6, 0 :: v_dual_mov_b32 v7, 0
	s_waitcnt vmcnt(0)
	ds_store_b16 v1, v5 offset:528
	s_waitcnt lgkmcnt(0)
	s_abs_i32 s37, s35
	s_ashr_i32 s35, s35, 31
	s_mul_hi_u32 s38, s37, s31
	s_xor_b32 s35, s35, s15
	s_mul_i32 s39, s38, s13
	s_delay_alu instid0(SALU_CYCLE_1)
	s_sub_i32 s37, s37, s39
	s_add_i32 s39, s38, 1
	s_sub_i32 s40, s37, s13
	s_cmp_ge_u32 s37, s13
	s_cselect_b32 s38, s39, s38
	s_cselect_b32 s37, s40, s37
	s_add_i32 s39, s38, 1
	s_cmp_ge_u32 s37, s13
	s_cselect_b32 s37, s39, s38
	s_delay_alu instid0(SALU_CYCLE_1) | instskip(NEXT) | instid1(SALU_CYCLE_1)
	s_xor_b32 s37, s37, s35
	s_sub_i32 s35, s37, s35
	s_delay_alu instid0(SALU_CYCLE_1)
	s_cmp_ge_i32 s35, s4
	s_cbranch_scc1 .LBB6_9
; %bb.8:
	s_mul_hi_i32 s39, s35, s6
	s_mul_i32 s38, s35, s6
	s_delay_alu instid0(SALU_CYCLE_1) | instskip(NEXT) | instid1(SALU_CYCLE_1)
	s_lshl_b64 s[38:39], s[38:39], 1
	v_add_co_u32 v7, vcc_lo, v2, s38
	v_add_co_ci_u32_e32 v8, vcc_lo, s39, v4, vcc_lo
	global_load_u16 v7, v[7:8], off
.LBB6_9:
	s_load_b32 s2, s[2:3], 0xc
	s_waitcnt vmcnt(0)
	ds_store_b16 v1, v7 offset:1056
	s_waitcnt lgkmcnt(0)
	s_abs_i32 s3, s2
	s_ashr_i32 s2, s2, 31
	s_mul_hi_u32 s31, s3, s31
	s_xor_b32 s2, s2, s15
	s_mul_i32 s35, s31, s13
	s_add_i32 s15, s31, 1
	s_sub_i32 s3, s3, s35
	s_delay_alu instid0(SALU_CYCLE_1)
	s_sub_i32 s35, s3, s13
	s_cmp_ge_u32 s3, s13
	s_cselect_b32 s15, s15, s31
	s_cselect_b32 s3, s35, s3
	s_add_i32 s31, s15, 1
	s_cmp_ge_u32 s3, s13
	s_cselect_b32 s3, s31, s15
	s_delay_alu instid0(SALU_CYCLE_1) | instskip(NEXT) | instid1(SALU_CYCLE_1)
	s_xor_b32 s3, s3, s2
	s_sub_i32 s2, s3, s2
	s_delay_alu instid0(SALU_CYCLE_1)
	s_cmp_ge_i32 s2, s4
	s_cbranch_scc1 .LBB6_11
; %bb.10:
	s_mul_hi_i32 s3, s2, s6
	s_mul_i32 s2, s2, s6
	s_delay_alu instid0(SALU_CYCLE_1) | instskip(NEXT) | instid1(SALU_CYCLE_1)
	s_lshl_b64 s[2:3], s[2:3], 1
	v_add_co_u32 v5, vcc_lo, v2, s2
	v_add_co_ci_u32_e32 v6, vcc_lo, s3, v4, vcc_lo
	global_load_u16 v6, v[5:6], off
.LBB6_11:
	s_waitcnt vmcnt(0)
	ds_store_b16 v1, v6 offset:1584
.LBB6_12:
	s_or_b32 exec_lo, exec_lo, s12
	v_lshlrev_b32_e32 v1, 2, v3
	s_waitcnt lgkmcnt(0)
	s_barrier
	buffer_gl0_inv
	s_mov_b32 s2, exec_lo
	v_lshl_add_u32 v1, s14, 10, v1
	s_delay_alu instid0(VALU_DEP_1)
	v_cmpx_gt_i32_e64 s5, v1
	s_cbranch_execz .LBB6_187
; %bb.13:
	s_abs_i32 s2, s7
	s_abs_i32 s13, s6
	v_cvt_f32_u32_e32 v2, s2
	s_sub_i32 s12, 0, s2
	s_xor_b32 s7, s6, s7
	s_delay_alu instid0(SALU_CYCLE_1) | instskip(NEXT) | instid1(VALU_DEP_1)
	s_ashr_i32 s7, s7, 31
	v_rcp_iflag_f32_e32 v2, v2
	s_waitcnt_depctr 0xfff
	v_mul_f32_e32 v2, 0x4f7ffffe, v2
	s_delay_alu instid0(VALU_DEP_1) | instskip(NEXT) | instid1(VALU_DEP_1)
	v_cvt_u32_f32_e32 v2, v2
	v_readfirstlane_b32 s3, v2
	s_delay_alu instid0(VALU_DEP_1) | instskip(NEXT) | instid1(SALU_CYCLE_1)
	s_mul_i32 s12, s12, s3
	s_mul_hi_u32 s12, s3, s12
	s_delay_alu instid0(SALU_CYCLE_1) | instskip(NEXT) | instid1(SALU_CYCLE_1)
	s_add_i32 s3, s3, s12
	s_mul_hi_u32 s3, s13, s3
	s_delay_alu instid0(SALU_CYCLE_1) | instskip(NEXT) | instid1(SALU_CYCLE_1)
	s_mul_i32 s12, s3, s2
	s_sub_i32 s12, s13, s12
	s_add_i32 s13, s3, 1
	s_sub_i32 s14, s12, s2
	s_cmp_ge_u32 s12, s2
	s_cselect_b32 s3, s13, s3
	s_cselect_b32 s12, s14, s12
	s_add_i32 s13, s3, 1
	s_cmp_ge_u32 s12, s2
	s_mov_b32 s12, 0
	s_cselect_b32 s2, s13, s3
	s_mov_b32 s13, s12
	s_xor_b32 s2, s2, s7
	s_mov_b32 s14, s12
	s_sub_i32 s31, s2, s7
	s_mov_b32 s15, s12
	s_abs_i32 s7, s31
	v_dual_mov_b32 v4, s12 :: v_dual_mov_b32 v5, s13
	v_cvt_f32_u32_e32 v2, s7
	v_mov_b32_e32 v6, s14
	s_cmp_lt_i32 s34, s6
	v_mov_b32_e32 v7, s15
	s_clause 0x1
	scratch_store_b128 off, v[4:7], off
	scratch_store_b128 off, v[4:7], off offset:16
	v_rcp_iflag_f32_e32 v2, v2
	s_clause 0x1
	scratch_store_b128 off, v[4:7], off offset:32
	scratch_store_b128 off, v[4:7], off offset:48
	v_mul_f32_e32 v2, 0x4f7ffffe, v2
	s_delay_alu instid0(VALU_DEP_1) | instskip(SKIP_1) | instid1(VALU_DEP_2)
	v_cvt_u32_f32_e32 v8, v2
	v_ashrrev_i32_e32 v2, 31, v1
	v_readfirstlane_b32 s13, v8
	s_cbranch_scc1 .LBB6_15
; %bb.14:
	s_ashr_i32 s3, s5, 31
	s_mov_b32 s2, s5
	v_lshlrev_b64 v[16:17], 1, v[1:2]
	s_and_not1_b32 vcc_lo, exec_lo, s12
	s_cbranch_vccz .LBB6_16
	s_branch .LBB6_28
.LBB6_15:
                                        ; implicit-def: $sgpr2_sgpr3
	s_delay_alu instid0(VALU_DEP_2)
	v_lshlrev_b64 v[16:17], 1, v[1:2]
.LBB6_16:
	s_sub_i32 s2, 0, s7
	s_mul_hi_i32 s3, s36, s10
	s_mul_i32 s2, s2, s13
	s_abs_i32 s6, s34
	s_mul_hi_u32 s2, s13, s2
	s_ashr_i32 s35, s34, 31
	s_add_i32 s13, s13, s2
	s_mul_i32 s2, s36, s10
	s_ashr_i32 s10, s31, 31
	s_lshl_b64 s[2:3], s[2:3], 1
	s_add_i32 s12, 0, 32
	s_mul_hi_i32 s15, s36, s11
	s_mul_i32 s14, s36, s11
	s_add_u32 s20, s20, s2
	s_addc_u32 s11, s21, s3
	s_lshl_b64 s[2:3], s[14:15], 2
	s_mul_hi_u32 s13, s6, s13
	s_add_u32 s15, s22, s2
	s_mul_i32 s2, s13, s7
	s_addc_u32 s21, s23, s3
	s_sub_i32 s2, s6, s2
	v_lshrrev_b32_e32 v4, 29, v2
	s_xor_b32 s10, s35, s10
	s_add_i32 s3, s13, 1
	s_sub_i32 s6, s2, s7
	s_cmp_ge_u32 s2, s7
	v_add_nc_u32_e32 v4, v1, v4
	s_cselect_b32 s3, s3, s13
	s_cselect_b32 s2, s6, s2
	s_add_i32 s6, s3, 1
	s_cmp_ge_u32 s2, s7
	v_ashrrev_i32_e32 v4, 3, v4
	s_cselect_b32 s2, s6, s3
	s_ashr_i32 s3, s5, 31
	s_xor_b32 s2, s2, s10
	s_lshr_b32 s6, s3, 29
	v_ashrrev_i32_e32 v5, 31, v4
	s_add_i32 s6, s5, s6
	s_sub_i32 s13, s2, s10
	s_ashr_i32 s14, s6, 3
	s_load_b64 s[0:1], s[0:1], 0x4
	s_mul_i32 s6, s13, s14
	v_lshlrev_b64 v[4:5], 2, v[4:5]
	s_ashr_i32 s7, s6, 31
	v_bfe_u32 v10, v0, 10, 10
	s_lshl_b64 s[6:7], s[6:7], 2
	v_bfe_u32 v11, v0, 20, 10
	s_add_u32 s2, s15, s6
	s_addc_u32 s10, s21, s7
	v_add_co_u32 v6, vcc_lo, s2, v4
	v_add_co_ci_u32_e32 v7, vcc_lo, s10, v5, vcc_lo
	s_mul_i32 s6, s13, s5
	v_lshlrev_b64 v[0:1], 2, v[1:2]
	s_ashr_i32 s7, s6, 31
	global_load_b32 v8, v[6:7], off
	s_lshl_b64 s[6:7], s[6:7], 1
	v_lshlrev_b32_e32 v9, 4, v3
	s_add_u32 s2, s20, s6
	s_addc_u32 s6, s11, s7
	v_add_co_u32 v6, vcc_lo, s2, v16
	v_add_co_ci_u32_e32 v7, vcc_lo, s6, v17, vcc_lo
	s_mul_hi_i32 s7, s36, s9
	s_mul_i32 s6, s36, s9
	v_add_co_u32 v23, vcc_lo, s20, v16
	global_load_b64 v[6:7], v[6:7], off
	s_lshl_b64 s[6:7], s[6:7], 2
	v_add_co_ci_u32_e32 v24, vcc_lo, s11, v17, vcc_lo
	s_add_u32 s9, s18, s6
	s_addc_u32 s10, s19, s7
	s_ashr_i32 s6, s34, 3
	s_waitcnt lgkmcnt(0)
	s_lshr_b32 s0, s0, 16
	s_mul_i32 s6, s6, s5
	s_mul_i32 s11, s0, s1
	s_ashr_i32 s7, s6, 31
	v_mul_u32_u24_e32 v2, s1, v10
	s_lshl_b64 s[0:1], s[6:7], 2
	v_add_co_u32 v25, vcc_lo, s15, v4
	v_mul_lo_u32 v3, s11, v3
	s_add_u32 s6, s9, s0
	v_add_co_ci_u32_e32 v26, vcc_lo, s21, v5, vcc_lo
	v_and_b32_e32 v22, 16, v9
	v_add_co_u32 v18, vcc_lo, s6, v0
	s_addc_u32 s1, s10, s1
	s_lshl_b32 s0, s5, 2
	v_add_co_ci_u32_e32 v19, vcc_lo, s1, v1, vcc_lo
	v_add3_u32 v1, v3, v2, v11
	s_mov_b32 s2, s5
	s_add_i32 s7, s13, 1
	s_ashr_i32 s1, s0, 31
	s_mul_i32 s9, s7, s31
	v_lshl_add_u32 v27, v1, 4, 0x840
	s_lshl_b64 s[6:7], s[2:3], 2
	s_mov_b32 s15, 0xf000f
	s_lshl_b64 s[10:11], s[0:1], 2
	s_mov_b32 s18, s34
	s_waitcnt vmcnt(1)
	v_lshrrev_b32_e32 v0, v9, v8
	v_bfe_u32 v2, v8, v22, 4
	s_delay_alu instid0(VALU_DEP_2) | instskip(SKIP_2) | instid1(VALU_DEP_4)
	v_bfe_u32 v3, v0, 4, 4
	v_bfe_u32 v4, v0, 8, 4
	;; [unrolled: 1-line block ×3, first 2 shown]
	v_add_nc_u32_e32 v2, 0x81, v2
	s_delay_alu instid0(VALU_DEP_4) | instskip(NEXT) | instid1(VALU_DEP_4)
	v_add_nc_u32_e32 v3, 0x81, v3
	v_add_nc_u32_e32 v4, 0x81, v4
	s_delay_alu instid0(VALU_DEP_4)
	v_add_nc_u32_e32 v0, 0x81, v0
	s_waitcnt vmcnt(0)
	v_lshlrev_b32_e32 v28, 16, v6
	v_and_b32_e32 v29, 0xffff0000, v6
	v_lshlrev_b32_e32 v30, 16, v7
	v_and_b32_e32 v31, 0xffff0000, v7
	v_cvt_f32_ubyte0_e32 v2, v2
	v_cvt_f32_ubyte0_e32 v3, v3
	;; [unrolled: 1-line block ×4, first 2 shown]
	s_delay_alu instid0(VALU_DEP_4) | instskip(NEXT) | instid1(VALU_DEP_4)
	v_mul_f32_e64 v32, -v2, v28
	v_mul_f32_e64 v33, -v3, v29
	s_delay_alu instid0(VALU_DEP_4) | instskip(NEXT) | instid1(VALU_DEP_4)
	v_mul_f32_e64 v34, -v4, v30
	v_mul_f32_e64 v35, -v0, v31
.LBB6_17:                               ; =>This Loop Header: Depth=1
                                        ;     Child Loop BB6_20 Depth 2
                                        ;     Child Loop BB6_22 Depth 2
	;; [unrolled: 1-line block ×4, first 2 shown]
	s_cmp_lg_u32 s18, s9
	s_cbranch_scc1 .LBB6_19
; %bb.18:                               ;   in Loop: Header=BB6_17 Depth=1
	s_add_i32 s13, s13, 1
	s_add_i32 s9, s9, s31
	s_mul_i32 s0, s13, s14
	s_mul_i32 s20, s13, s5
	s_ashr_i32 s1, s0, 31
	s_ashr_i32 s21, s20, 31
	s_lshl_b64 s[0:1], s[0:1], 2
	s_delay_alu instid0(SALU_CYCLE_1) | instskip(SKIP_2) | instid1(SALU_CYCLE_1)
	v_add_co_u32 v0, vcc_lo, v25, s0
	v_add_co_ci_u32_e32 v1, vcc_lo, s1, v26, vcc_lo
	s_lshl_b64 s[0:1], s[20:21], 1
	v_add_co_u32 v2, vcc_lo, v23, s0
	v_add_co_ci_u32_e32 v3, vcc_lo, s1, v24, vcc_lo
	global_load_b32 v4, v[0:1], off
	global_load_b64 v[0:1], v[2:3], off
	s_waitcnt vmcnt(1)
	v_lshrrev_b32_e32 v2, v22, v4
	v_bfe_u32 v3, v4, v22, 4
	s_waitcnt vmcnt(0)
	v_lshlrev_b32_e32 v28, 16, v0
	v_and_b32_e32 v29, 0xffff0000, v0
	v_lshlrev_b32_e32 v30, 16, v1
	v_bfe_u32 v0, v2, 4, 4
	v_bfe_u32 v4, v2, 8, 4
	;; [unrolled: 1-line block ×3, first 2 shown]
	v_add_nc_u32_e32 v3, 0x81, v3
	v_and_b32_e32 v31, 0xffff0000, v1
	v_add_nc_u32_e32 v0, 0x81, v0
	v_add_nc_u32_e32 v4, 0x81, v4
	;; [unrolled: 1-line block ×3, first 2 shown]
	v_cvt_f32_ubyte0_e32 v1, v3
	s_delay_alu instid0(VALU_DEP_4) | instskip(NEXT) | instid1(VALU_DEP_4)
	v_cvt_f32_ubyte0_e32 v0, v0
	v_cvt_f32_ubyte0_e32 v3, v4
	s_delay_alu instid0(VALU_DEP_4) | instskip(NEXT) | instid1(VALU_DEP_4)
	v_cvt_f32_ubyte0_e32 v2, v2
	v_mul_f32_e64 v32, -v1, v28
	s_delay_alu instid0(VALU_DEP_4) | instskip(NEXT) | instid1(VALU_DEP_4)
	v_mul_f32_e64 v33, -v0, v29
	v_mul_f32_e64 v34, -v3, v30
	s_delay_alu instid0(VALU_DEP_4)
	v_mul_f32_e64 v35, -v2, v31
.LBB6_19:                               ;   in Loop: Header=BB6_17 Depth=1
	global_load_b128 v[39:42], v[18:19], off
	s_sub_i32 s0, s18, s34
	v_mov_b32_e32 v38, v27
	s_lshl_b32 s19, s0, 1
	s_mov_b32 s20, 0
	v_mov_b32_e32 v12, s19
	s_mov_b32 s21, s12
	ds_load_b128 v[0:3], v12
	ds_load_b128 v[4:7], v12 offset:528
	ds_load_b128 v[8:11], v12 offset:1056
	;; [unrolled: 1-line block ×3, first 2 shown]
	s_waitcnt lgkmcnt(3)
	v_dot2_f32_bf16 v20, v0, 0x3f803f80, 0
	s_waitcnt lgkmcnt(2)
	v_dot2_f32_bf16 v21, v4, 0x3f803f80, 0
	;; [unrolled: 2-line block ×4, first 2 shown]
	v_dot2_f32_bf16 v20, v1, 0x3f803f80, v20
	v_dot2_f32_bf16 v21, v5, 0x3f803f80, v21
	;; [unrolled: 1-line block ×3, first 2 shown]
	s_delay_alu instid0(VALU_DEP_4) | instskip(NEXT) | instid1(VALU_DEP_4)
	v_dot2_f32_bf16 v37, v13, 0x3f803f80, v37
	v_dot2_f32_bf16 v20, v2, 0x3f803f80, v20
	s_delay_alu instid0(VALU_DEP_4) | instskip(NEXT) | instid1(VALU_DEP_4)
	v_dot2_f32_bf16 v21, v6, 0x3f803f80, v21
	v_dot2_f32_bf16 v36, v10, 0x3f803f80, v36
	;; [unrolled: 3-line block ×4, first 2 shown]
	s_delay_alu instid0(VALU_DEP_4)
	v_dot2_f32_bf16 v37, v15, 0x3f803f80, v37
	s_waitcnt vmcnt(0)
	ds_store_b128 v27, v[39:42]
.LBB6_20:                               ;   Parent Loop BB6_17 Depth=1
                                        ; =>  This Inner Loop Header: Depth=2
	s_clause 0x2
	scratch_load_b32 v39, off, s21 offset:-32
	scratch_load_b32 v40, off, s21 offset:-16
	scratch_load_b32 v41, off, s21
	s_cmp_eq_u32 s20, 1
	ds_load_b32 v44, v38
	s_cselect_b32 vcc_lo, -1, 0
	s_cmp_eq_u32 s20, 2
	v_dual_cndmask_b32 v45, v32, v33 :: v_dual_add_nc_u32 v38, 4, v38
	s_cselect_b32 s0, -1, 0
	s_cmp_eq_u32 s20, 3
	s_cselect_b32 s1, -1, 0
	s_add_i32 s22, s21, 16
	v_cndmask_b32_e64 v45, v45, v34, s0
	scratch_load_b32 v43, off, s22
	s_add_i32 s20, s20, 1
	v_cndmask_b32_e64 v45, v45, v35, s1
	v_cndmask_b32_e32 v42, v28, v29, vcc_lo
	s_waitcnt lgkmcnt(0)
	v_lshrrev_b32_e32 v46, 4, v44
	v_and_or_b32 v48, v44, s15, 0x43004300
	v_lshrrev_b32_e32 v47, 8, v44
	v_lshrrev_b32_e32 v44, 12, v44
	s_delay_alu instid0(VALU_DEP_4) | instskip(NEXT) | instid1(VALU_DEP_4)
	v_and_or_b32 v46, v46, s15, 0x43004300
	v_dot2_f32_bf16 v49, v0, v48, 0
	v_dot2_f32_bf16 v50, v4, v48, 0
	;; [unrolled: 1-line block ×3, first 2 shown]
	v_and_or_b32 v47, v47, s15, 0x43004300
	v_dot2_f32_bf16 v48, v12, v48, 0
	v_dot2_f32_bf16 v49, v1, v46, v49
	;; [unrolled: 1-line block ×4, first 2 shown]
	v_and_or_b32 v44, v44, s15, 0x43004300
	v_dot2_f32_bf16 v46, v13, v46, v48
	v_dot2_f32_bf16 v48, v2, v47, v49
	;; [unrolled: 1-line block ×4, first 2 shown]
	s_delay_alu instid0(VALU_DEP_4) | instskip(NEXT) | instid1(VALU_DEP_4)
	v_dot2_f32_bf16 v46, v14, v47, v46
	v_dot2_f32_bf16 v47, v3, v44, v48
	s_delay_alu instid0(VALU_DEP_4) | instskip(NEXT) | instid1(VALU_DEP_4)
	v_dot2_f32_bf16 v48, v7, v44, v49
	v_dot2_f32_bf16 v49, v11, v44, v50
	s_delay_alu instid0(VALU_DEP_4)
	v_dot2_f32_bf16 v44, v15, v44, v46
	s_waitcnt vmcnt(3)
	v_fmac_f32_e32 v39, v45, v20
	s_waitcnt vmcnt(1)
	v_fmac_f32_e32 v41, v45, v36
	v_cndmask_b32_e64 v42, v42, v30, s0
	s_delay_alu instid0(VALU_DEP_1) | instskip(NEXT) | instid1(VALU_DEP_1)
	v_cndmask_b32_e64 v42, v42, v31, s1
	v_dual_fmac_f32 v40, v45, v21 :: v_dual_fmac_f32 v39, v42, v47
	s_waitcnt vmcnt(0)
	s_delay_alu instid0(VALU_DEP_1)
	v_dual_fmac_f32 v40, v42, v48 :: v_dual_fmac_f32 v43, v45, v37
	v_fmac_f32_e32 v41, v42, v49
	s_clause 0x1
	scratch_store_b32 off, v40, s21 offset:-16
	scratch_store_b32 off, v41, s21
	v_fmac_f32_e32 v43, v42, v44
	scratch_store_b32 off, v39, s21 offset:-32
	s_add_i32 s21, s21, 4
	s_cmp_eq_u32 s20, 4
	scratch_store_b32 off, v43, s22
	s_cbranch_scc0 .LBB6_20
; %bb.21:                               ;   in Loop: Header=BB6_17 Depth=1
	v_add_co_u32 v20, vcc_lo, v18, s6
	v_add_co_ci_u32_e32 v21, vcc_lo, s7, v19, vcc_lo
	v_mov_b32_e32 v12, s19
	v_mov_b32_e32 v40, v27
	s_mov_b32 s20, 0
	global_load_b128 v[41:44], v[20:21], off
	ds_load_b128 v[0:3], v12 offset:16
	ds_load_b128 v[4:7], v12 offset:544
	;; [unrolled: 1-line block ×4, first 2 shown]
	s_mov_b32 s21, s12
	s_waitcnt lgkmcnt(3)
	v_dot2_f32_bf16 v36, v0, 0x3f803f80, 0
	s_waitcnt lgkmcnt(2)
	v_dot2_f32_bf16 v37, v4, 0x3f803f80, 0
	;; [unrolled: 2-line block ×4, first 2 shown]
	v_dot2_f32_bf16 v36, v1, 0x3f803f80, v36
	v_dot2_f32_bf16 v37, v5, 0x3f803f80, v37
	;; [unrolled: 1-line block ×3, first 2 shown]
	s_delay_alu instid0(VALU_DEP_4) | instskip(NEXT) | instid1(VALU_DEP_4)
	v_dot2_f32_bf16 v39, v13, 0x3f803f80, v39
	v_dot2_f32_bf16 v36, v2, 0x3f803f80, v36
	s_delay_alu instid0(VALU_DEP_4) | instskip(NEXT) | instid1(VALU_DEP_4)
	v_dot2_f32_bf16 v37, v6, 0x3f803f80, v37
	v_dot2_f32_bf16 v38, v10, 0x3f803f80, v38
	;; [unrolled: 3-line block ×4, first 2 shown]
	s_delay_alu instid0(VALU_DEP_4)
	v_dot2_f32_bf16 v39, v15, 0x3f803f80, v39
	s_waitcnt vmcnt(0)
	ds_store_b128 v27, v[41:44]
.LBB6_22:                               ;   Parent Loop BB6_17 Depth=1
                                        ; =>  This Inner Loop Header: Depth=2
	s_clause 0x2
	scratch_load_b32 v41, off, s21 offset:-32
	scratch_load_b32 v42, off, s21 offset:-16
	scratch_load_b32 v43, off, s21
	s_cmp_eq_u32 s20, 1
	ds_load_b32 v46, v40
	s_cselect_b32 vcc_lo, -1, 0
	s_cmp_eq_u32 s20, 2
	v_dual_cndmask_b32 v47, v32, v33 :: v_dual_add_nc_u32 v40, 4, v40
	s_cselect_b32 s0, -1, 0
	s_cmp_eq_u32 s20, 3
	s_cselect_b32 s1, -1, 0
	s_add_i32 s22, s21, 16
	v_cndmask_b32_e64 v47, v47, v34, s0
	scratch_load_b32 v45, off, s22
	s_add_i32 s20, s20, 1
	v_cndmask_b32_e64 v47, v47, v35, s1
	v_cndmask_b32_e32 v44, v28, v29, vcc_lo
	s_waitcnt lgkmcnt(0)
	v_lshrrev_b32_e32 v48, 4, v46
	v_and_or_b32 v50, v46, s15, 0x43004300
	v_lshrrev_b32_e32 v49, 8, v46
	v_lshrrev_b32_e32 v46, 12, v46
	s_delay_alu instid0(VALU_DEP_4) | instskip(NEXT) | instid1(VALU_DEP_4)
	v_and_or_b32 v48, v48, s15, 0x43004300
	v_dot2_f32_bf16 v51, v0, v50, 0
	v_dot2_f32_bf16 v52, v4, v50, 0
	;; [unrolled: 1-line block ×3, first 2 shown]
	v_and_or_b32 v49, v49, s15, 0x43004300
	v_dot2_f32_bf16 v50, v12, v50, 0
	v_dot2_f32_bf16 v51, v1, v48, v51
	;; [unrolled: 1-line block ×4, first 2 shown]
	v_and_or_b32 v46, v46, s15, 0x43004300
	v_dot2_f32_bf16 v48, v13, v48, v50
	v_dot2_f32_bf16 v50, v2, v49, v51
	;; [unrolled: 1-line block ×4, first 2 shown]
	s_delay_alu instid0(VALU_DEP_4) | instskip(NEXT) | instid1(VALU_DEP_4)
	v_dot2_f32_bf16 v48, v14, v49, v48
	v_dot2_f32_bf16 v49, v3, v46, v50
	s_delay_alu instid0(VALU_DEP_4) | instskip(NEXT) | instid1(VALU_DEP_4)
	v_dot2_f32_bf16 v50, v7, v46, v51
	v_dot2_f32_bf16 v51, v11, v46, v52
	s_delay_alu instid0(VALU_DEP_4) | instskip(SKIP_3) | instid1(VALU_DEP_1)
	v_dot2_f32_bf16 v46, v15, v46, v48
	s_waitcnt vmcnt(1)
	v_fmac_f32_e32 v43, v47, v38
	v_cndmask_b32_e64 v44, v44, v30, s0
	v_cndmask_b32_e64 v44, v44, v31, s1
	s_delay_alu instid0(VALU_DEP_1) | instskip(NEXT) | instid1(VALU_DEP_1)
	v_dual_fmac_f32 v42, v47, v37 :: v_dual_fmac_f32 v43, v44, v51
	v_dual_fmac_f32 v41, v47, v36 :: v_dual_fmac_f32 v42, v44, v50
	s_waitcnt vmcnt(0)
	v_fmac_f32_e32 v45, v47, v39
	s_clause 0x1
	scratch_store_b32 off, v42, s21 offset:-16
	scratch_store_b32 off, v43, s21
	v_fmac_f32_e32 v41, v44, v49
	v_fmac_f32_e32 v45, v44, v46
	s_clause 0x1
	scratch_store_b32 off, v41, s21 offset:-32
	scratch_store_b32 off, v45, s22
	s_add_i32 s21, s21, 4
	s_cmp_lg_u32 s20, 4
	s_cbranch_scc1 .LBB6_22
; %bb.23:                               ;   in Loop: Header=BB6_17 Depth=1
	v_add_co_u32 v20, vcc_lo, v20, s6
	v_add_co_ci_u32_e32 v21, vcc_lo, s7, v21, vcc_lo
	v_mov_b32_e32 v12, s19
	v_mov_b32_e32 v40, v27
	s_mov_b32 s20, 0
	global_load_b128 v[41:44], v[20:21], off
	ds_load_b128 v[0:3], v12 offset:32
	ds_load_b128 v[4:7], v12 offset:560
	ds_load_b128 v[8:11], v12 offset:1088
	ds_load_b128 v[12:15], v12 offset:1616
	s_mov_b32 s21, s12
	s_waitcnt lgkmcnt(3)
	v_dot2_f32_bf16 v36, v0, 0x3f803f80, 0
	s_waitcnt lgkmcnt(2)
	v_dot2_f32_bf16 v37, v4, 0x3f803f80, 0
	;; [unrolled: 2-line block ×4, first 2 shown]
	v_dot2_f32_bf16 v36, v1, 0x3f803f80, v36
	v_dot2_f32_bf16 v37, v5, 0x3f803f80, v37
	;; [unrolled: 1-line block ×3, first 2 shown]
	s_delay_alu instid0(VALU_DEP_4) | instskip(NEXT) | instid1(VALU_DEP_4)
	v_dot2_f32_bf16 v39, v13, 0x3f803f80, v39
	v_dot2_f32_bf16 v36, v2, 0x3f803f80, v36
	s_delay_alu instid0(VALU_DEP_4) | instskip(NEXT) | instid1(VALU_DEP_4)
	v_dot2_f32_bf16 v37, v6, 0x3f803f80, v37
	v_dot2_f32_bf16 v38, v10, 0x3f803f80, v38
	;; [unrolled: 3-line block ×4, first 2 shown]
	s_delay_alu instid0(VALU_DEP_4)
	v_dot2_f32_bf16 v39, v15, 0x3f803f80, v39
	s_waitcnt vmcnt(0)
	ds_store_b128 v27, v[41:44]
.LBB6_24:                               ;   Parent Loop BB6_17 Depth=1
                                        ; =>  This Inner Loop Header: Depth=2
	s_clause 0x2
	scratch_load_b32 v41, off, s21 offset:-32
	scratch_load_b32 v42, off, s21 offset:-16
	scratch_load_b32 v43, off, s21
	s_cmp_eq_u32 s20, 1
	ds_load_b32 v46, v40
	s_cselect_b32 vcc_lo, -1, 0
	s_cmp_eq_u32 s20, 2
	v_dual_cndmask_b32 v47, v32, v33 :: v_dual_add_nc_u32 v40, 4, v40
	s_cselect_b32 s0, -1, 0
	s_cmp_eq_u32 s20, 3
	s_cselect_b32 s1, -1, 0
	s_add_i32 s22, s21, 16
	v_cndmask_b32_e64 v47, v47, v34, s0
	scratch_load_b32 v45, off, s22
	s_add_i32 s20, s20, 1
	v_cndmask_b32_e64 v47, v47, v35, s1
	v_cndmask_b32_e32 v44, v28, v29, vcc_lo
	s_waitcnt lgkmcnt(0)
	v_lshrrev_b32_e32 v48, 4, v46
	v_and_or_b32 v50, v46, s15, 0x43004300
	v_lshrrev_b32_e32 v49, 8, v46
	v_lshrrev_b32_e32 v46, 12, v46
	s_delay_alu instid0(VALU_DEP_4) | instskip(NEXT) | instid1(VALU_DEP_4)
	v_and_or_b32 v48, v48, s15, 0x43004300
	v_dot2_f32_bf16 v51, v0, v50, 0
	v_dot2_f32_bf16 v52, v4, v50, 0
	;; [unrolled: 1-line block ×3, first 2 shown]
	v_and_or_b32 v49, v49, s15, 0x43004300
	v_dot2_f32_bf16 v50, v12, v50, 0
	v_dot2_f32_bf16 v51, v1, v48, v51
	;; [unrolled: 1-line block ×4, first 2 shown]
	v_and_or_b32 v46, v46, s15, 0x43004300
	v_dot2_f32_bf16 v48, v13, v48, v50
	v_dot2_f32_bf16 v50, v2, v49, v51
	;; [unrolled: 1-line block ×4, first 2 shown]
	s_delay_alu instid0(VALU_DEP_4) | instskip(NEXT) | instid1(VALU_DEP_4)
	v_dot2_f32_bf16 v48, v14, v49, v48
	v_dot2_f32_bf16 v49, v3, v46, v50
	s_delay_alu instid0(VALU_DEP_4) | instskip(NEXT) | instid1(VALU_DEP_4)
	v_dot2_f32_bf16 v50, v7, v46, v51
	v_dot2_f32_bf16 v51, v11, v46, v52
	s_delay_alu instid0(VALU_DEP_4) | instskip(SKIP_3) | instid1(VALU_DEP_1)
	v_dot2_f32_bf16 v46, v15, v46, v48
	s_waitcnt vmcnt(1)
	v_fmac_f32_e32 v43, v47, v38
	v_cndmask_b32_e64 v44, v44, v30, s0
	v_cndmask_b32_e64 v44, v44, v31, s1
	s_delay_alu instid0(VALU_DEP_1) | instskip(NEXT) | instid1(VALU_DEP_1)
	v_dual_fmac_f32 v42, v47, v37 :: v_dual_fmac_f32 v43, v44, v51
	v_dual_fmac_f32 v41, v47, v36 :: v_dual_fmac_f32 v42, v44, v50
	s_waitcnt vmcnt(0)
	v_fmac_f32_e32 v45, v47, v39
	s_clause 0x1
	scratch_store_b32 off, v42, s21 offset:-16
	scratch_store_b32 off, v43, s21
	v_fmac_f32_e32 v41, v44, v49
	v_fmac_f32_e32 v45, v44, v46
	s_clause 0x1
	scratch_store_b32 off, v41, s21 offset:-32
	scratch_store_b32 off, v45, s22
	s_add_i32 s21, s21, 4
	s_cmp_lg_u32 s20, 4
	s_cbranch_scc1 .LBB6_24
; %bb.25:                               ;   in Loop: Header=BB6_17 Depth=1
	v_add_co_u32 v0, vcc_lo, v20, s6
	v_add_co_ci_u32_e32 v1, vcc_lo, s7, v21, vcc_lo
	v_mov_b32_e32 v12, s19
	v_mov_b32_e32 v38, v27
	s_mov_b32 s19, 0
	global_load_b128 v[39:42], v[0:1], off
	ds_load_b128 v[0:3], v12 offset:48
	ds_load_b128 v[4:7], v12 offset:576
	;; [unrolled: 1-line block ×4, first 2 shown]
	s_mov_b32 s20, s12
	s_waitcnt lgkmcnt(3)
	v_dot2_f32_bf16 v20, v0, 0x3f803f80, 0
	s_waitcnt lgkmcnt(2)
	v_dot2_f32_bf16 v21, v4, 0x3f803f80, 0
	;; [unrolled: 2-line block ×4, first 2 shown]
	v_dot2_f32_bf16 v20, v1, 0x3f803f80, v20
	v_dot2_f32_bf16 v21, v5, 0x3f803f80, v21
	;; [unrolled: 1-line block ×3, first 2 shown]
	s_delay_alu instid0(VALU_DEP_4) | instskip(NEXT) | instid1(VALU_DEP_4)
	v_dot2_f32_bf16 v37, v13, 0x3f803f80, v37
	v_dot2_f32_bf16 v20, v2, 0x3f803f80, v20
	s_delay_alu instid0(VALU_DEP_4) | instskip(NEXT) | instid1(VALU_DEP_4)
	v_dot2_f32_bf16 v21, v6, 0x3f803f80, v21
	v_dot2_f32_bf16 v36, v10, 0x3f803f80, v36
	;; [unrolled: 3-line block ×4, first 2 shown]
	s_delay_alu instid0(VALU_DEP_4)
	v_dot2_f32_bf16 v37, v15, 0x3f803f80, v37
	s_waitcnt vmcnt(0)
	ds_store_b128 v27, v[39:42]
.LBB6_26:                               ;   Parent Loop BB6_17 Depth=1
                                        ; =>  This Inner Loop Header: Depth=2
	s_clause 0x2
	scratch_load_b32 v39, off, s20 offset:-32
	scratch_load_b32 v40, off, s20 offset:-16
	scratch_load_b32 v41, off, s20
	s_cmp_eq_u32 s19, 1
	ds_load_b32 v44, v38
	s_cselect_b32 vcc_lo, -1, 0
	s_cmp_eq_u32 s19, 2
	v_dual_cndmask_b32 v45, v32, v33 :: v_dual_add_nc_u32 v38, 4, v38
	s_cselect_b32 s0, -1, 0
	s_cmp_eq_u32 s19, 3
	s_cselect_b32 s1, -1, 0
	s_add_i32 s21, s20, 16
	v_cndmask_b32_e64 v45, v45, v34, s0
	scratch_load_b32 v43, off, s21
	s_add_i32 s19, s19, 1
	v_cndmask_b32_e64 v45, v45, v35, s1
	v_cndmask_b32_e32 v42, v28, v29, vcc_lo
	s_waitcnt lgkmcnt(0)
	v_lshrrev_b32_e32 v46, 4, v44
	v_and_or_b32 v48, v44, s15, 0x43004300
	v_lshrrev_b32_e32 v47, 8, v44
	v_lshrrev_b32_e32 v44, 12, v44
	s_delay_alu instid0(VALU_DEP_4) | instskip(NEXT) | instid1(VALU_DEP_4)
	v_and_or_b32 v46, v46, s15, 0x43004300
	v_dot2_f32_bf16 v49, v0, v48, 0
	v_dot2_f32_bf16 v50, v4, v48, 0
	;; [unrolled: 1-line block ×3, first 2 shown]
	v_and_or_b32 v47, v47, s15, 0x43004300
	v_dot2_f32_bf16 v48, v12, v48, 0
	v_dot2_f32_bf16 v49, v1, v46, v49
	v_dot2_f32_bf16 v50, v5, v46, v50
	v_dot2_f32_bf16 v51, v9, v46, v51
	v_and_or_b32 v44, v44, s15, 0x43004300
	v_dot2_f32_bf16 v46, v13, v46, v48
	v_dot2_f32_bf16 v48, v2, v47, v49
	;; [unrolled: 1-line block ×4, first 2 shown]
	s_delay_alu instid0(VALU_DEP_4) | instskip(NEXT) | instid1(VALU_DEP_4)
	v_dot2_f32_bf16 v46, v14, v47, v46
	v_dot2_f32_bf16 v47, v3, v44, v48
	s_delay_alu instid0(VALU_DEP_4) | instskip(NEXT) | instid1(VALU_DEP_4)
	v_dot2_f32_bf16 v48, v7, v44, v49
	v_dot2_f32_bf16 v49, v11, v44, v50
	s_delay_alu instid0(VALU_DEP_4)
	v_dot2_f32_bf16 v44, v15, v44, v46
	s_waitcnt vmcnt(3)
	v_fmac_f32_e32 v39, v45, v20
	s_waitcnt vmcnt(1)
	v_fmac_f32_e32 v41, v45, v36
	v_cndmask_b32_e64 v42, v42, v30, s0
	s_delay_alu instid0(VALU_DEP_1) | instskip(NEXT) | instid1(VALU_DEP_1)
	v_cndmask_b32_e64 v42, v42, v31, s1
	v_dual_fmac_f32 v40, v45, v21 :: v_dual_fmac_f32 v39, v42, v47
	s_waitcnt vmcnt(0)
	s_delay_alu instid0(VALU_DEP_1)
	v_dual_fmac_f32 v40, v42, v48 :: v_dual_fmac_f32 v43, v45, v37
	v_fmac_f32_e32 v41, v42, v49
	s_clause 0x1
	scratch_store_b32 off, v40, s20 offset:-16
	scratch_store_b32 off, v41, s20
	v_fmac_f32_e32 v43, v42, v44
	scratch_store_b32 off, v39, s20 offset:-32
	s_add_i32 s20, s20, 4
	s_cmp_lg_u32 s19, 4
	scratch_store_b32 off, v43, s21
	s_cbranch_scc1 .LBB6_26
; %bb.27:                               ;   in Loop: Header=BB6_17 Depth=1
	v_add_co_u32 v18, vcc_lo, v18, s10
	v_add_co_ci_u32_e32 v19, vcc_lo, s11, v19, vcc_lo
	s_add_i32 s18, s18, 32
	s_delay_alu instid0(SALU_CYCLE_1)
	s_cmp_ge_i32 s18, s33
	s_cbranch_scc0 .LBB6_17
.LBB6_28:
	s_bitcmp1_b32 s28, 0
	s_delay_alu instid0(VALU_DEP_1) | instskip(SKIP_4) | instid1(SALU_CYCLE_1)
	v_add_co_u32 v6, vcc_lo, s16, v16
	s_cselect_b32 s0, -1, 0
	s_cmp_lg_u64 s[24:25], 0
	v_add_co_ci_u32_e32 v7, vcc_lo, s17, v17, vcc_lo
	s_cselect_b32 s1, -1, 0
	s_and_b32 s11, s1, s0
	s_cmp_gt_i32 s29, 0
	v_cndmask_b32_e64 v8, 0, 1, s11
	s_cselect_b32 s5, -1, 0
	s_ashr_i32 s31, s30, 31
	s_delay_alu instid0(SALU_CYCLE_1) | instskip(NEXT) | instid1(VALU_DEP_1)
	s_lshl_b64 s[0:1], s[30:31], 2
	v_cmp_ne_u32_e32 vcc_lo, 1, v8
	s_add_u32 s0, s26, s0
	s_addc_u32 s1, s27, s1
	s_abs_i32 s9, s8
	s_load_b32 s6, s[0:1], 0x0
	v_cvt_f32_u32_e32 v0, s9
	s_sub_i32 s7, 0, s9
	s_ashr_i32 s8, s8, 31
	s_delay_alu instid0(VALU_DEP_1) | instskip(SKIP_4) | instid1(VALU_DEP_1)
	v_rcp_iflag_f32_e32 v0, v0
	s_waitcnt_depctr 0xfff
	v_mul_f32_e32 v0, 0x4f7ffffe, v0
	s_waitcnt lgkmcnt(0)
	s_abs_i32 s12, s6
	v_cvt_u32_f32_e32 v0, v0
	s_delay_alu instid0(VALU_DEP_1) | instskip(NEXT) | instid1(VALU_DEP_1)
	v_readfirstlane_b32 s10, v0
	s_mul_i32 s7, s7, s10
	s_delay_alu instid0(SALU_CYCLE_1) | instskip(NEXT) | instid1(SALU_CYCLE_1)
	s_mul_hi_u32 s7, s10, s7
	s_add_i32 s10, s10, s7
	s_ashr_i32 s7, s6, 31
	s_mul_hi_u32 s13, s12, s10
	s_xor_b32 s15, s7, s8
	s_mul_i32 s14, s13, s9
	s_add_i32 s18, s13, 1
	s_sub_i32 s14, s12, s14
	s_delay_alu instid0(SALU_CYCLE_1)
	s_sub_i32 s19, s14, s9
	s_cmp_ge_u32 s14, s9
	s_cselect_b32 s13, s18, s13
	s_cselect_b32 s14, s19, s14
	s_add_i32 s18, s13, 1
	s_cmp_ge_u32 s14, s9
	s_cselect_b32 s13, s18, s13
	s_delay_alu instid0(SALU_CYCLE_1) | instskip(NEXT) | instid1(SALU_CYCLE_1)
	s_xor_b32 s13, s13, s15
	s_sub_i32 s13, s13, s15
	s_delay_alu instid0(SALU_CYCLE_1)
	s_cmp_lt_i32 s13, s4
	s_cbranch_scc0 .LBB6_68
; %bb.29:
	s_and_b32 vcc_lo, exec_lo, vcc_lo
	s_cbranch_vccnz .LBB6_31
; %bb.30:
	scratch_load_b128 v[0:3], off, off
	s_lshl_b64 s[14:15], s[6:7], 2
	s_delay_alu instid0(SALU_CYCLE_1)
	s_add_u32 s14, s24, s14
	s_addc_u32 s15, s25, s15
	s_load_b32 s13, s[14:15], 0x0
	s_waitcnt vmcnt(0) lgkmcnt(0)
	v_dual_mul_f32 v0, s13, v0 :: v_dual_mul_f32 v1, s13, v1
	v_dual_mul_f32 v2, s13, v2 :: v_dual_mul_f32 v3, s13, v3
	scratch_store_b128 off, v[0:3], off
.LBB6_31:
	s_and_not1_b32 vcc_lo, exec_lo, s5
	s_cbranch_vccnz .LBB6_33
; %bb.32:
	s_abs_i32 s6, s29
	s_delay_alu instid0(SALU_CYCLE_1) | instskip(SKIP_1) | instid1(VALU_DEP_1)
	v_cvt_f32_u32_e32 v0, s6
	s_sub_i32 s14, 0, s6
	v_rcp_iflag_f32_e32 v0, v0
	s_waitcnt_depctr 0xfff
	v_mul_f32_e32 v0, 0x4f7ffffe, v0
	s_delay_alu instid0(VALU_DEP_1) | instskip(NEXT) | instid1(VALU_DEP_1)
	v_cvt_u32_f32_e32 v0, v0
	v_readfirstlane_b32 s13, v0
	s_delay_alu instid0(VALU_DEP_1) | instskip(NEXT) | instid1(SALU_CYCLE_1)
	s_mul_i32 s14, s14, s13
	s_mul_hi_u32 s14, s13, s14
	s_delay_alu instid0(SALU_CYCLE_1)
	s_add_i32 s13, s13, s14
	s_ashr_i32 s14, s29, 31
	s_mul_hi_u32 s13, s12, s13
	s_xor_b32 s7, s7, s14
	s_mul_i32 s15, s13, s6
	s_add_i32 s14, s13, 1
	s_sub_i32 s12, s12, s15
	s_delay_alu instid0(SALU_CYCLE_1)
	s_sub_i32 s15, s12, s6
	s_cmp_ge_u32 s12, s6
	s_cselect_b32 s13, s14, s13
	s_cselect_b32 s12, s15, s12
	s_add_i32 s14, s13, 1
	s_cmp_ge_u32 s12, s6
	s_cselect_b32 s6, s14, s13
	s_delay_alu instid0(SALU_CYCLE_1) | instskip(NEXT) | instid1(SALU_CYCLE_1)
	s_xor_b32 s6, s6, s7
	s_sub_i32 s6, s6, s7
.LBB6_33:
	scratch_load_b32 v1, off, off
	s_waitcnt vmcnt(0)
	v_and_b32_e32 v0, 0x7f800000, v1
	s_delay_alu instid0(VALU_DEP_1) | instskip(SKIP_1) | instid1(SALU_CYCLE_1)
	v_cmp_ne_u32_e32 vcc_lo, 0x7f800000, v0
                                        ; implicit-def: $vgpr0
	s_and_saveexec_b32 s7, vcc_lo
	s_xor_b32 s7, exec_lo, s7
; %bb.34:
	v_bfe_u32 v0, v1, 16, 1
	s_delay_alu instid0(VALU_DEP_1)
	v_add3_u32 v0, v1, v0, 0x7fff
                                        ; implicit-def: $vgpr1
; %bb.35:
	s_and_not1_saveexec_b32 s7, s7
; %bb.36:
	v_and_b32_e32 v0, 0xffff, v1
	v_or_b32_e32 v2, 0x10000, v1
	s_delay_alu instid0(VALU_DEP_2) | instskip(NEXT) | instid1(VALU_DEP_2)
	v_cmp_eq_u32_e32 vcc_lo, 0, v0
	v_cndmask_b32_e32 v0, v2, v1, vcc_lo
; %bb.37:
	s_or_b32 exec_lo, exec_lo, s7
	scratch_load_b32 v2, off, off offset:4
	s_waitcnt vmcnt(0)
	v_and_b32_e32 v1, 0x7f800000, v2
	s_delay_alu instid0(VALU_DEP_1) | instskip(SKIP_1) | instid1(SALU_CYCLE_1)
	v_cmp_ne_u32_e32 vcc_lo, 0x7f800000, v1
                                        ; implicit-def: $vgpr1
	s_and_saveexec_b32 s7, vcc_lo
	s_xor_b32 s7, exec_lo, s7
; %bb.38:
	v_bfe_u32 v1, v2, 16, 1
	s_delay_alu instid0(VALU_DEP_1)
	v_add3_u32 v1, v2, v1, 0x7fff
                                        ; implicit-def: $vgpr2
; %bb.39:
	s_and_not1_saveexec_b32 s7, s7
; %bb.40:
	v_and_b32_e32 v1, 0xffff, v2
	v_or_b32_e32 v3, 0x10000, v2
	s_delay_alu instid0(VALU_DEP_2) | instskip(NEXT) | instid1(VALU_DEP_2)
	v_cmp_eq_u32_e32 vcc_lo, 0, v1
	v_cndmask_b32_e32 v1, v3, v2, vcc_lo
; %bb.41:
	s_or_b32 exec_lo, exec_lo, s7
	scratch_load_b32 v2, off, off offset:8
	s_mov_b32 s7, exec_lo
                                        ; implicit-def: $vgpr9
	s_waitcnt vmcnt(0)
	v_and_b32_e32 v3, 0x7f800000, v2
	s_delay_alu instid0(VALU_DEP_1)
	v_cmpx_ne_u32_e32 0x7f800000, v3
	s_xor_b32 s7, exec_lo, s7
; %bb.42:
	v_bfe_u32 v3, v2, 16, 1
	s_delay_alu instid0(VALU_DEP_1)
	v_add3_u32 v9, v2, v3, 0x7fff
                                        ; implicit-def: $vgpr2
; %bb.43:
	s_and_not1_saveexec_b32 s7, s7
; %bb.44:
	v_and_b32_e32 v3, 0xffff, v2
	v_or_b32_e32 v4, 0x10000, v2
	s_delay_alu instid0(VALU_DEP_2) | instskip(NEXT) | instid1(VALU_DEP_2)
	v_cmp_eq_u32_e32 vcc_lo, 0, v3
	v_cndmask_b32_e32 v9, v4, v2, vcc_lo
; %bb.45:
	s_or_b32 exec_lo, exec_lo, s7
	scratch_load_b32 v2, off, off offset:12
	s_mov_b32 s7, exec_lo
                                        ; implicit-def: $vgpr12
	s_waitcnt vmcnt(0)
	v_and_b32_e32 v3, 0x7f800000, v2
	s_delay_alu instid0(VALU_DEP_1)
	v_cmpx_ne_u32_e32 0x7f800000, v3
	s_xor_b32 s7, exec_lo, s7
; %bb.46:
	v_bfe_u32 v3, v2, 16, 1
	s_delay_alu instid0(VALU_DEP_1)
	v_add3_u32 v12, v2, v3, 0x7fff
                                        ; implicit-def: $vgpr2
; %bb.47:
	s_and_not1_saveexec_b32 s7, s7
; %bb.48:
	v_and_b32_e32 v3, 0xffff, v2
	v_or_b32_e32 v4, 0x10000, v2
	s_delay_alu instid0(VALU_DEP_2) | instskip(NEXT) | instid1(VALU_DEP_2)
	v_cmp_eq_u32_e32 vcc_lo, 0, v3
	v_cndmask_b32_e32 v12, v4, v2, vcc_lo
; %bb.49:
	s_or_b32 exec_lo, exec_lo, s7
	s_ashr_i32 s7, s6, 31
	s_mul_hi_u32 s12, s2, s6
	s_mul_i32 s7, s2, s7
	s_mul_i32 s13, s3, s6
	s_add_i32 s7, s12, s7
	s_mul_i32 s6, s2, s6
	s_add_i32 s7, s7, s13
	v_and_b32_e32 v9, 0xffff0000, v9
	s_lshl_b64 s[6:7], s[6:7], 1
	v_and_b32_e32 v10, 0xffff0000, v1
	v_add_co_u32 v4, vcc_lo, v6, s6
	v_add_co_ci_u32_e32 v5, vcc_lo, s7, v7, vcc_lo
	v_and_b32_e32 v11, 0xffff0000, v0
	v_and_b32_e32 v12, 0xffff0000, v12
	s_mov_b32 s6, 0
	global_load_b64 v[2:3], v[4:5], off
	s_branch .LBB6_51
.LBB6_50:                               ;   in Loop: Header=BB6_51 Depth=1
	s_or_b32 exec_lo, exec_lo, s7
	v_lshrrev_b32_e32 v1, 16, v1
	s_delay_alu instid0(VALU_DEP_2) | instskip(SKIP_1) | instid1(VALU_DEP_2)
	v_and_b32_e32 v14, 0xffff0000, v15
	v_lshrrev_b32_e32 v0, 16, v0
	v_or_b32_e32 v1, v14, v1
	s_delay_alu instid0(VALU_DEP_2)
	v_and_or_b32 v0, 0xffff0000, v13, v0
	global_atomic_cmpswap_b64 v[0:1], v[4:5], v[0:3], off glc
	s_waitcnt vmcnt(0)
	v_cmp_eq_u64_e32 vcc_lo, v[0:1], v[2:3]
	v_dual_mov_b32 v3, v1 :: v_dual_mov_b32 v2, v0
	s_or_b32 s6, vcc_lo, s6
	s_delay_alu instid0(SALU_CYCLE_1)
	s_and_not1_b32 exec_lo, exec_lo, s6
	s_cbranch_execz .LBB6_67
.LBB6_51:                               ; =>This Inner Loop Header: Depth=1
	s_waitcnt vmcnt(0)
	v_lshlrev_b32_e32 v0, 16, v2
	s_delay_alu instid0(VALU_DEP_1) | instskip(NEXT) | instid1(VALU_DEP_1)
	v_add_f32_e32 v1, v11, v0
	v_and_b32_e32 v0, 0x7f800000, v1
	s_delay_alu instid0(VALU_DEP_1) | instskip(SKIP_1) | instid1(SALU_CYCLE_1)
	v_cmp_ne_u32_e32 vcc_lo, 0x7f800000, v0
                                        ; implicit-def: $vgpr0
	s_and_saveexec_b32 s7, vcc_lo
	s_xor_b32 s7, exec_lo, s7
; %bb.52:                               ;   in Loop: Header=BB6_51 Depth=1
	v_bfe_u32 v0, v1, 16, 1
	s_delay_alu instid0(VALU_DEP_1)
	v_add3_u32 v0, v1, v0, 0x7fff
                                        ; implicit-def: $vgpr1
; %bb.53:                               ;   in Loop: Header=BB6_51 Depth=1
	s_and_not1_saveexec_b32 s7, s7
; %bb.54:                               ;   in Loop: Header=BB6_51 Depth=1
	v_and_b32_e32 v0, 0xffff, v1
	v_or_b32_e32 v13, 0x10000, v1
	s_delay_alu instid0(VALU_DEP_2) | instskip(NEXT) | instid1(VALU_DEP_2)
	v_cmp_eq_u32_e32 vcc_lo, 0, v0
	v_cndmask_b32_e32 v0, v13, v1, vcc_lo
; %bb.55:                               ;   in Loop: Header=BB6_51 Depth=1
	s_or_b32 exec_lo, exec_lo, s7
	v_and_b32_e32 v1, 0xffff0000, v2
	s_delay_alu instid0(VALU_DEP_1) | instskip(NEXT) | instid1(VALU_DEP_1)
	v_add_f32_e32 v1, v10, v1
	v_and_b32_e32 v13, 0x7f800000, v1
	s_delay_alu instid0(VALU_DEP_1) | instskip(SKIP_1) | instid1(SALU_CYCLE_1)
	v_cmp_ne_u32_e32 vcc_lo, 0x7f800000, v13
                                        ; implicit-def: $vgpr13
	s_and_saveexec_b32 s7, vcc_lo
	s_xor_b32 s7, exec_lo, s7
; %bb.56:                               ;   in Loop: Header=BB6_51 Depth=1
	v_bfe_u32 v13, v1, 16, 1
	s_delay_alu instid0(VALU_DEP_1)
	v_add3_u32 v13, v1, v13, 0x7fff
                                        ; implicit-def: $vgpr1
; %bb.57:                               ;   in Loop: Header=BB6_51 Depth=1
	s_and_not1_saveexec_b32 s7, s7
; %bb.58:                               ;   in Loop: Header=BB6_51 Depth=1
	v_and_b32_e32 v13, 0xffff, v1
	v_or_b32_e32 v14, 0x10000, v1
	s_delay_alu instid0(VALU_DEP_2) | instskip(NEXT) | instid1(VALU_DEP_2)
	v_cmp_eq_u32_e32 vcc_lo, 0, v13
	v_cndmask_b32_e32 v13, v14, v1, vcc_lo
; %bb.59:                               ;   in Loop: Header=BB6_51 Depth=1
	s_or_b32 exec_lo, exec_lo, s7
	v_alignbit_b32 v1, v3, v2, 16
	s_delay_alu instid0(VALU_DEP_1) | instskip(NEXT) | instid1(VALU_DEP_1)
	v_and_b32_e32 v1, 0xffff0000, v1
	v_add_f32_e32 v14, v9, v1
	s_delay_alu instid0(VALU_DEP_1) | instskip(NEXT) | instid1(VALU_DEP_1)
	v_and_b32_e32 v1, 0x7f800000, v14
	v_cmp_ne_u32_e32 vcc_lo, 0x7f800000, v1
                                        ; implicit-def: $vgpr1
	s_and_saveexec_b32 s7, vcc_lo
	s_delay_alu instid0(SALU_CYCLE_1)
	s_xor_b32 s7, exec_lo, s7
; %bb.60:                               ;   in Loop: Header=BB6_51 Depth=1
	v_bfe_u32 v1, v14, 16, 1
	s_delay_alu instid0(VALU_DEP_1)
	v_add3_u32 v1, v14, v1, 0x7fff
                                        ; implicit-def: $vgpr14
; %bb.61:                               ;   in Loop: Header=BB6_51 Depth=1
	s_and_not1_saveexec_b32 s7, s7
; %bb.62:                               ;   in Loop: Header=BB6_51 Depth=1
	v_and_b32_e32 v1, 0xffff, v14
	v_or_b32_e32 v15, 0x10000, v14
	s_delay_alu instid0(VALU_DEP_2) | instskip(NEXT) | instid1(VALU_DEP_2)
	v_cmp_eq_u32_e32 vcc_lo, 0, v1
	v_cndmask_b32_e32 v1, v15, v14, vcc_lo
; %bb.63:                               ;   in Loop: Header=BB6_51 Depth=1
	s_or_b32 exec_lo, exec_lo, s7
	v_and_b32_e32 v14, 0xffff0000, v3
	s_delay_alu instid0(VALU_DEP_1) | instskip(NEXT) | instid1(VALU_DEP_1)
	v_add_f32_e32 v14, v12, v14
	v_and_b32_e32 v15, 0x7f800000, v14
	s_delay_alu instid0(VALU_DEP_1) | instskip(SKIP_1) | instid1(SALU_CYCLE_1)
	v_cmp_ne_u32_e32 vcc_lo, 0x7f800000, v15
                                        ; implicit-def: $vgpr15
	s_and_saveexec_b32 s7, vcc_lo
	s_xor_b32 s7, exec_lo, s7
; %bb.64:                               ;   in Loop: Header=BB6_51 Depth=1
	v_bfe_u32 v15, v14, 16, 1
	s_delay_alu instid0(VALU_DEP_1)
	v_add3_u32 v15, v14, v15, 0x7fff
                                        ; implicit-def: $vgpr14
; %bb.65:                               ;   in Loop: Header=BB6_51 Depth=1
	s_and_not1_saveexec_b32 s7, s7
	s_cbranch_execz .LBB6_50
; %bb.66:                               ;   in Loop: Header=BB6_51 Depth=1
	v_and_b32_e32 v15, 0xffff, v14
	v_or_b32_e32 v16, 0x10000, v14
	s_delay_alu instid0(VALU_DEP_2) | instskip(NEXT) | instid1(VALU_DEP_2)
	v_cmp_eq_u32_e32 vcc_lo, 0, v15
	v_cndmask_b32_e32 v15, v16, v14, vcc_lo
	s_branch .LBB6_50
.LBB6_67:
	s_or_b32 exec_lo, exec_lo, s6
.LBB6_68:
	s_load_b32 s6, s[0:1], 0x4
	s_waitcnt lgkmcnt(0)
	s_abs_i32 s12, s6
	s_ashr_i32 s7, s6, 31
	s_mul_hi_u32 s13, s12, s10
	s_xor_b32 s15, s7, s8
	s_mul_i32 s14, s13, s9
	s_add_i32 s16, s13, 1
	s_sub_i32 s14, s12, s14
	s_delay_alu instid0(SALU_CYCLE_1)
	s_sub_i32 s17, s14, s9
	s_cmp_ge_u32 s14, s9
	s_cselect_b32 s13, s16, s13
	s_cselect_b32 s14, s17, s14
	s_add_i32 s16, s13, 1
	s_cmp_ge_u32 s14, s9
	s_cselect_b32 s13, s16, s13
	s_delay_alu instid0(SALU_CYCLE_1) | instskip(NEXT) | instid1(SALU_CYCLE_1)
	s_xor_b32 s13, s13, s15
	s_sub_i32 s13, s13, s15
	s_delay_alu instid0(SALU_CYCLE_1)
	s_cmp_ge_i32 s13, s4
	s_cbranch_scc1 .LBB6_108
; %bb.69:
	s_and_not1_b32 vcc_lo, exec_lo, s11
	s_cbranch_vccnz .LBB6_71
; %bb.70:
	scratch_load_b128 v[0:3], off, off offset:16
	s_lshl_b64 s[14:15], s[6:7], 2
	s_delay_alu instid0(SALU_CYCLE_1)
	s_add_u32 s14, s24, s14
	s_addc_u32 s15, s25, s15
	s_load_b32 s11, s[14:15], 0x0
	s_waitcnt vmcnt(0) lgkmcnt(0)
	v_dual_mul_f32 v0, s11, v0 :: v_dual_mul_f32 v1, s11, v1
	v_dual_mul_f32 v2, s11, v2 :: v_dual_mul_f32 v3, s11, v3
	scratch_store_b128 off, v[0:3], off offset:16
.LBB6_71:
	s_and_not1_b32 vcc_lo, exec_lo, s5
	s_cbranch_vccnz .LBB6_73
; %bb.72:
	s_abs_i32 s6, s29
	s_delay_alu instid0(SALU_CYCLE_1) | instskip(SKIP_1) | instid1(VALU_DEP_1)
	v_cvt_f32_u32_e32 v0, s6
	s_sub_i32 s13, 0, s6
	v_rcp_iflag_f32_e32 v0, v0
	s_waitcnt_depctr 0xfff
	v_mul_f32_e32 v0, 0x4f7ffffe, v0
	s_delay_alu instid0(VALU_DEP_1) | instskip(NEXT) | instid1(VALU_DEP_1)
	v_cvt_u32_f32_e32 v0, v0
	v_readfirstlane_b32 s11, v0
	s_delay_alu instid0(VALU_DEP_1) | instskip(NEXT) | instid1(SALU_CYCLE_1)
	s_mul_i32 s13, s13, s11
	s_mul_hi_u32 s13, s11, s13
	s_delay_alu instid0(SALU_CYCLE_1)
	s_add_i32 s11, s11, s13
	s_ashr_i32 s13, s29, 31
	s_mul_hi_u32 s11, s12, s11
	s_xor_b32 s7, s7, s13
	s_mul_i32 s14, s11, s6
	s_add_i32 s13, s11, 1
	s_sub_i32 s12, s12, s14
	s_delay_alu instid0(SALU_CYCLE_1)
	s_sub_i32 s14, s12, s6
	s_cmp_ge_u32 s12, s6
	s_cselect_b32 s11, s13, s11
	s_cselect_b32 s12, s14, s12
	s_add_i32 s13, s11, 1
	s_cmp_ge_u32 s12, s6
	s_cselect_b32 s6, s13, s11
	s_delay_alu instid0(SALU_CYCLE_1) | instskip(NEXT) | instid1(SALU_CYCLE_1)
	s_xor_b32 s6, s6, s7
	s_sub_i32 s6, s6, s7
.LBB6_73:
	scratch_load_b32 v1, off, off offset:16
	s_waitcnt vmcnt(0)
	v_and_b32_e32 v0, 0x7f800000, v1
	s_delay_alu instid0(VALU_DEP_1) | instskip(SKIP_1) | instid1(SALU_CYCLE_1)
	v_cmp_ne_u32_e32 vcc_lo, 0x7f800000, v0
                                        ; implicit-def: $vgpr0
	s_and_saveexec_b32 s7, vcc_lo
	s_xor_b32 s7, exec_lo, s7
; %bb.74:
	v_bfe_u32 v0, v1, 16, 1
	s_delay_alu instid0(VALU_DEP_1)
	v_add3_u32 v0, v1, v0, 0x7fff
                                        ; implicit-def: $vgpr1
; %bb.75:
	s_and_not1_saveexec_b32 s7, s7
; %bb.76:
	v_and_b32_e32 v0, 0xffff, v1
	v_or_b32_e32 v2, 0x10000, v1
	s_delay_alu instid0(VALU_DEP_2) | instskip(NEXT) | instid1(VALU_DEP_2)
	v_cmp_eq_u32_e32 vcc_lo, 0, v0
	v_cndmask_b32_e32 v0, v2, v1, vcc_lo
; %bb.77:
	s_or_b32 exec_lo, exec_lo, s7
	scratch_load_b32 v2, off, off offset:20
	s_waitcnt vmcnt(0)
	v_and_b32_e32 v1, 0x7f800000, v2
	s_delay_alu instid0(VALU_DEP_1) | instskip(SKIP_1) | instid1(SALU_CYCLE_1)
	v_cmp_ne_u32_e32 vcc_lo, 0x7f800000, v1
                                        ; implicit-def: $vgpr1
	s_and_saveexec_b32 s7, vcc_lo
	s_xor_b32 s7, exec_lo, s7
; %bb.78:
	v_bfe_u32 v1, v2, 16, 1
	s_delay_alu instid0(VALU_DEP_1)
	v_add3_u32 v1, v2, v1, 0x7fff
                                        ; implicit-def: $vgpr2
; %bb.79:
	s_and_not1_saveexec_b32 s7, s7
; %bb.80:
	v_and_b32_e32 v1, 0xffff, v2
	v_or_b32_e32 v3, 0x10000, v2
	s_delay_alu instid0(VALU_DEP_2) | instskip(NEXT) | instid1(VALU_DEP_2)
	v_cmp_eq_u32_e32 vcc_lo, 0, v1
	v_cndmask_b32_e32 v1, v3, v2, vcc_lo
; %bb.81:
	s_or_b32 exec_lo, exec_lo, s7
	scratch_load_b32 v2, off, off offset:24
	s_mov_b32 s7, exec_lo
                                        ; implicit-def: $vgpr9
	s_waitcnt vmcnt(0)
	v_and_b32_e32 v3, 0x7f800000, v2
	s_delay_alu instid0(VALU_DEP_1)
	v_cmpx_ne_u32_e32 0x7f800000, v3
	s_xor_b32 s7, exec_lo, s7
; %bb.82:
	v_bfe_u32 v3, v2, 16, 1
	s_delay_alu instid0(VALU_DEP_1)
	v_add3_u32 v9, v2, v3, 0x7fff
                                        ; implicit-def: $vgpr2
; %bb.83:
	s_and_not1_saveexec_b32 s7, s7
; %bb.84:
	v_and_b32_e32 v3, 0xffff, v2
	v_or_b32_e32 v4, 0x10000, v2
	s_delay_alu instid0(VALU_DEP_2) | instskip(NEXT) | instid1(VALU_DEP_2)
	v_cmp_eq_u32_e32 vcc_lo, 0, v3
	v_cndmask_b32_e32 v9, v4, v2, vcc_lo
; %bb.85:
	s_or_b32 exec_lo, exec_lo, s7
	scratch_load_b32 v2, off, off offset:28
	s_mov_b32 s7, exec_lo
                                        ; implicit-def: $vgpr12
	s_waitcnt vmcnt(0)
	v_and_b32_e32 v3, 0x7f800000, v2
	s_delay_alu instid0(VALU_DEP_1)
	v_cmpx_ne_u32_e32 0x7f800000, v3
	s_xor_b32 s7, exec_lo, s7
; %bb.86:
	v_bfe_u32 v3, v2, 16, 1
	s_delay_alu instid0(VALU_DEP_1)
	v_add3_u32 v12, v2, v3, 0x7fff
                                        ; implicit-def: $vgpr2
; %bb.87:
	s_and_not1_saveexec_b32 s7, s7
; %bb.88:
	v_and_b32_e32 v3, 0xffff, v2
	v_or_b32_e32 v4, 0x10000, v2
	s_delay_alu instid0(VALU_DEP_2) | instskip(NEXT) | instid1(VALU_DEP_2)
	v_cmp_eq_u32_e32 vcc_lo, 0, v3
	v_cndmask_b32_e32 v12, v4, v2, vcc_lo
; %bb.89:
	s_or_b32 exec_lo, exec_lo, s7
	s_ashr_i32 s7, s6, 31
	s_mul_hi_u32 s11, s2, s6
	s_mul_i32 s7, s2, s7
	s_mul_i32 s12, s3, s6
	s_add_i32 s7, s11, s7
	s_mul_i32 s6, s2, s6
	s_add_i32 s7, s7, s12
	v_and_b32_e32 v9, 0xffff0000, v9
	s_lshl_b64 s[6:7], s[6:7], 1
	v_and_b32_e32 v10, 0xffff0000, v1
	v_add_co_u32 v4, vcc_lo, v6, s6
	v_add_co_ci_u32_e32 v5, vcc_lo, s7, v7, vcc_lo
	v_and_b32_e32 v11, 0xffff0000, v0
	v_and_b32_e32 v12, 0xffff0000, v12
	s_mov_b32 s6, 0
	global_load_b64 v[2:3], v[4:5], off
	s_branch .LBB6_91
.LBB6_90:                               ;   in Loop: Header=BB6_91 Depth=1
	s_or_b32 exec_lo, exec_lo, s7
	v_lshrrev_b32_e32 v1, 16, v1
	s_delay_alu instid0(VALU_DEP_2) | instskip(SKIP_1) | instid1(VALU_DEP_2)
	v_and_b32_e32 v14, 0xffff0000, v15
	v_lshrrev_b32_e32 v0, 16, v0
	v_or_b32_e32 v1, v14, v1
	s_delay_alu instid0(VALU_DEP_2)
	v_and_or_b32 v0, 0xffff0000, v13, v0
	global_atomic_cmpswap_b64 v[0:1], v[4:5], v[0:3], off glc
	s_waitcnt vmcnt(0)
	v_cmp_eq_u64_e32 vcc_lo, v[0:1], v[2:3]
	v_dual_mov_b32 v3, v1 :: v_dual_mov_b32 v2, v0
	s_or_b32 s6, vcc_lo, s6
	s_delay_alu instid0(SALU_CYCLE_1)
	s_and_not1_b32 exec_lo, exec_lo, s6
	s_cbranch_execz .LBB6_107
.LBB6_91:                               ; =>This Inner Loop Header: Depth=1
	s_waitcnt vmcnt(0)
	v_lshlrev_b32_e32 v0, 16, v2
	s_delay_alu instid0(VALU_DEP_1) | instskip(NEXT) | instid1(VALU_DEP_1)
	v_add_f32_e32 v1, v11, v0
	v_and_b32_e32 v0, 0x7f800000, v1
	s_delay_alu instid0(VALU_DEP_1) | instskip(SKIP_1) | instid1(SALU_CYCLE_1)
	v_cmp_ne_u32_e32 vcc_lo, 0x7f800000, v0
                                        ; implicit-def: $vgpr0
	s_and_saveexec_b32 s7, vcc_lo
	s_xor_b32 s7, exec_lo, s7
; %bb.92:                               ;   in Loop: Header=BB6_91 Depth=1
	v_bfe_u32 v0, v1, 16, 1
	s_delay_alu instid0(VALU_DEP_1)
	v_add3_u32 v0, v1, v0, 0x7fff
                                        ; implicit-def: $vgpr1
; %bb.93:                               ;   in Loop: Header=BB6_91 Depth=1
	s_and_not1_saveexec_b32 s7, s7
; %bb.94:                               ;   in Loop: Header=BB6_91 Depth=1
	v_and_b32_e32 v0, 0xffff, v1
	v_or_b32_e32 v13, 0x10000, v1
	s_delay_alu instid0(VALU_DEP_2) | instskip(NEXT) | instid1(VALU_DEP_2)
	v_cmp_eq_u32_e32 vcc_lo, 0, v0
	v_cndmask_b32_e32 v0, v13, v1, vcc_lo
; %bb.95:                               ;   in Loop: Header=BB6_91 Depth=1
	s_or_b32 exec_lo, exec_lo, s7
	v_and_b32_e32 v1, 0xffff0000, v2
	s_delay_alu instid0(VALU_DEP_1) | instskip(NEXT) | instid1(VALU_DEP_1)
	v_add_f32_e32 v1, v10, v1
	v_and_b32_e32 v13, 0x7f800000, v1
	s_delay_alu instid0(VALU_DEP_1) | instskip(SKIP_1) | instid1(SALU_CYCLE_1)
	v_cmp_ne_u32_e32 vcc_lo, 0x7f800000, v13
                                        ; implicit-def: $vgpr13
	s_and_saveexec_b32 s7, vcc_lo
	s_xor_b32 s7, exec_lo, s7
; %bb.96:                               ;   in Loop: Header=BB6_91 Depth=1
	v_bfe_u32 v13, v1, 16, 1
	s_delay_alu instid0(VALU_DEP_1)
	v_add3_u32 v13, v1, v13, 0x7fff
                                        ; implicit-def: $vgpr1
; %bb.97:                               ;   in Loop: Header=BB6_91 Depth=1
	s_and_not1_saveexec_b32 s7, s7
; %bb.98:                               ;   in Loop: Header=BB6_91 Depth=1
	v_and_b32_e32 v13, 0xffff, v1
	v_or_b32_e32 v14, 0x10000, v1
	s_delay_alu instid0(VALU_DEP_2) | instskip(NEXT) | instid1(VALU_DEP_2)
	v_cmp_eq_u32_e32 vcc_lo, 0, v13
	v_cndmask_b32_e32 v13, v14, v1, vcc_lo
; %bb.99:                               ;   in Loop: Header=BB6_91 Depth=1
	s_or_b32 exec_lo, exec_lo, s7
	v_alignbit_b32 v1, v3, v2, 16
	s_delay_alu instid0(VALU_DEP_1) | instskip(NEXT) | instid1(VALU_DEP_1)
	v_and_b32_e32 v1, 0xffff0000, v1
	v_add_f32_e32 v14, v9, v1
	s_delay_alu instid0(VALU_DEP_1) | instskip(NEXT) | instid1(VALU_DEP_1)
	v_and_b32_e32 v1, 0x7f800000, v14
	v_cmp_ne_u32_e32 vcc_lo, 0x7f800000, v1
                                        ; implicit-def: $vgpr1
	s_and_saveexec_b32 s7, vcc_lo
	s_delay_alu instid0(SALU_CYCLE_1)
	s_xor_b32 s7, exec_lo, s7
; %bb.100:                              ;   in Loop: Header=BB6_91 Depth=1
	v_bfe_u32 v1, v14, 16, 1
	s_delay_alu instid0(VALU_DEP_1)
	v_add3_u32 v1, v14, v1, 0x7fff
                                        ; implicit-def: $vgpr14
; %bb.101:                              ;   in Loop: Header=BB6_91 Depth=1
	s_and_not1_saveexec_b32 s7, s7
; %bb.102:                              ;   in Loop: Header=BB6_91 Depth=1
	v_and_b32_e32 v1, 0xffff, v14
	v_or_b32_e32 v15, 0x10000, v14
	s_delay_alu instid0(VALU_DEP_2) | instskip(NEXT) | instid1(VALU_DEP_2)
	v_cmp_eq_u32_e32 vcc_lo, 0, v1
	v_cndmask_b32_e32 v1, v15, v14, vcc_lo
; %bb.103:                              ;   in Loop: Header=BB6_91 Depth=1
	s_or_b32 exec_lo, exec_lo, s7
	v_and_b32_e32 v14, 0xffff0000, v3
	s_delay_alu instid0(VALU_DEP_1) | instskip(NEXT) | instid1(VALU_DEP_1)
	v_add_f32_e32 v14, v12, v14
	v_and_b32_e32 v15, 0x7f800000, v14
	s_delay_alu instid0(VALU_DEP_1) | instskip(SKIP_1) | instid1(SALU_CYCLE_1)
	v_cmp_ne_u32_e32 vcc_lo, 0x7f800000, v15
                                        ; implicit-def: $vgpr15
	s_and_saveexec_b32 s7, vcc_lo
	s_xor_b32 s7, exec_lo, s7
; %bb.104:                              ;   in Loop: Header=BB6_91 Depth=1
	v_bfe_u32 v15, v14, 16, 1
	s_delay_alu instid0(VALU_DEP_1)
	v_add3_u32 v15, v14, v15, 0x7fff
                                        ; implicit-def: $vgpr14
; %bb.105:                              ;   in Loop: Header=BB6_91 Depth=1
	s_and_not1_saveexec_b32 s7, s7
	s_cbranch_execz .LBB6_90
; %bb.106:                              ;   in Loop: Header=BB6_91 Depth=1
	v_and_b32_e32 v15, 0xffff, v14
	v_or_b32_e32 v16, 0x10000, v14
	s_delay_alu instid0(VALU_DEP_2) | instskip(NEXT) | instid1(VALU_DEP_2)
	v_cmp_eq_u32_e32 vcc_lo, 0, v15
	v_cndmask_b32_e32 v15, v16, v14, vcc_lo
	s_branch .LBB6_90
.LBB6_107:
	s_or_b32 exec_lo, exec_lo, s6
.LBB6_108:
	s_load_b32 s6, s[0:1], 0x8
	s_waitcnt lgkmcnt(0)
	s_abs_i32 s11, s6
	s_ashr_i32 s7, s6, 31
	s_mul_hi_u32 s12, s11, s10
	s_xor_b32 s14, s7, s8
	s_mul_i32 s13, s12, s9
	s_add_i32 s15, s12, 1
	s_sub_i32 s13, s11, s13
	s_delay_alu instid0(SALU_CYCLE_1)
	s_sub_i32 s16, s13, s9
	s_cmp_ge_u32 s13, s9
	s_cselect_b32 s12, s15, s12
	s_cselect_b32 s13, s16, s13
	s_add_i32 s15, s12, 1
	s_cmp_ge_u32 s13, s9
	s_cselect_b32 s12, s15, s12
	s_delay_alu instid0(SALU_CYCLE_1) | instskip(NEXT) | instid1(SALU_CYCLE_1)
	s_xor_b32 s12, s12, s14
	s_sub_i32 s12, s12, s14
	s_delay_alu instid0(SALU_CYCLE_1)
	s_cmp_ge_i32 s12, s4
	s_cbranch_scc1 .LBB6_148
; %bb.109:
	v_cmp_ne_u32_e32 vcc_lo, 1, v8
	s_cbranch_vccnz .LBB6_111
; %bb.110:
	scratch_load_b128 v[0:3], off, off offset:32
	s_lshl_b64 s[12:13], s[6:7], 2
	s_delay_alu instid0(SALU_CYCLE_1)
	s_add_u32 s12, s24, s12
	s_addc_u32 s13, s25, s13
	s_load_b32 s12, s[12:13], 0x0
	s_waitcnt vmcnt(0) lgkmcnt(0)
	v_dual_mul_f32 v0, s12, v0 :: v_dual_mul_f32 v1, s12, v1
	v_dual_mul_f32 v2, s12, v2 :: v_dual_mul_f32 v3, s12, v3
	scratch_store_b128 off, v[0:3], off offset:32
.LBB6_111:
	s_and_not1_b32 vcc_lo, exec_lo, s5
	s_cbranch_vccnz .LBB6_113
; %bb.112:
	s_abs_i32 s6, s29
	s_delay_alu instid0(SALU_CYCLE_1) | instskip(SKIP_1) | instid1(VALU_DEP_1)
	v_cvt_f32_u32_e32 v0, s6
	s_sub_i32 s13, 0, s6
	v_rcp_iflag_f32_e32 v0, v0
	s_waitcnt_depctr 0xfff
	v_mul_f32_e32 v0, 0x4f7ffffe, v0
	s_delay_alu instid0(VALU_DEP_1) | instskip(NEXT) | instid1(VALU_DEP_1)
	v_cvt_u32_f32_e32 v0, v0
	v_readfirstlane_b32 s12, v0
	s_delay_alu instid0(VALU_DEP_1) | instskip(NEXT) | instid1(SALU_CYCLE_1)
	s_mul_i32 s13, s13, s12
	s_mul_hi_u32 s13, s12, s13
	s_delay_alu instid0(SALU_CYCLE_1)
	s_add_i32 s12, s12, s13
	s_ashr_i32 s13, s29, 31
	s_mul_hi_u32 s12, s11, s12
	s_xor_b32 s7, s7, s13
	s_mul_i32 s14, s12, s6
	s_add_i32 s13, s12, 1
	s_sub_i32 s11, s11, s14
	s_delay_alu instid0(SALU_CYCLE_1)
	s_sub_i32 s14, s11, s6
	s_cmp_ge_u32 s11, s6
	s_cselect_b32 s12, s13, s12
	s_cselect_b32 s11, s14, s11
	s_add_i32 s13, s12, 1
	s_cmp_ge_u32 s11, s6
	s_cselect_b32 s6, s13, s12
	s_delay_alu instid0(SALU_CYCLE_1) | instskip(NEXT) | instid1(SALU_CYCLE_1)
	s_xor_b32 s6, s6, s7
	s_sub_i32 s6, s6, s7
.LBB6_113:
	scratch_load_b32 v1, off, off offset:32
	s_waitcnt vmcnt(0)
	v_and_b32_e32 v0, 0x7f800000, v1
	s_delay_alu instid0(VALU_DEP_1) | instskip(SKIP_1) | instid1(SALU_CYCLE_1)
	v_cmp_ne_u32_e32 vcc_lo, 0x7f800000, v0
                                        ; implicit-def: $vgpr0
	s_and_saveexec_b32 s7, vcc_lo
	s_xor_b32 s7, exec_lo, s7
; %bb.114:
	v_bfe_u32 v0, v1, 16, 1
	s_delay_alu instid0(VALU_DEP_1)
	v_add3_u32 v0, v1, v0, 0x7fff
                                        ; implicit-def: $vgpr1
; %bb.115:
	s_and_not1_saveexec_b32 s7, s7
; %bb.116:
	v_and_b32_e32 v0, 0xffff, v1
	v_or_b32_e32 v2, 0x10000, v1
	s_delay_alu instid0(VALU_DEP_2) | instskip(NEXT) | instid1(VALU_DEP_2)
	v_cmp_eq_u32_e32 vcc_lo, 0, v0
	v_cndmask_b32_e32 v0, v2, v1, vcc_lo
; %bb.117:
	s_or_b32 exec_lo, exec_lo, s7
	scratch_load_b32 v2, off, off offset:36
	s_waitcnt vmcnt(0)
	v_and_b32_e32 v1, 0x7f800000, v2
	s_delay_alu instid0(VALU_DEP_1) | instskip(SKIP_1) | instid1(SALU_CYCLE_1)
	v_cmp_ne_u32_e32 vcc_lo, 0x7f800000, v1
                                        ; implicit-def: $vgpr1
	s_and_saveexec_b32 s7, vcc_lo
	s_xor_b32 s7, exec_lo, s7
; %bb.118:
	v_bfe_u32 v1, v2, 16, 1
	s_delay_alu instid0(VALU_DEP_1)
	v_add3_u32 v1, v2, v1, 0x7fff
                                        ; implicit-def: $vgpr2
; %bb.119:
	s_and_not1_saveexec_b32 s7, s7
; %bb.120:
	v_and_b32_e32 v1, 0xffff, v2
	v_or_b32_e32 v3, 0x10000, v2
	s_delay_alu instid0(VALU_DEP_2) | instskip(NEXT) | instid1(VALU_DEP_2)
	v_cmp_eq_u32_e32 vcc_lo, 0, v1
	v_cndmask_b32_e32 v1, v3, v2, vcc_lo
; %bb.121:
	s_or_b32 exec_lo, exec_lo, s7
	scratch_load_b32 v2, off, off offset:40
	s_mov_b32 s7, exec_lo
                                        ; implicit-def: $vgpr9
	s_waitcnt vmcnt(0)
	v_and_b32_e32 v3, 0x7f800000, v2
	s_delay_alu instid0(VALU_DEP_1)
	v_cmpx_ne_u32_e32 0x7f800000, v3
	s_xor_b32 s7, exec_lo, s7
; %bb.122:
	v_bfe_u32 v3, v2, 16, 1
	s_delay_alu instid0(VALU_DEP_1)
	v_add3_u32 v9, v2, v3, 0x7fff
                                        ; implicit-def: $vgpr2
; %bb.123:
	s_and_not1_saveexec_b32 s7, s7
; %bb.124:
	v_and_b32_e32 v3, 0xffff, v2
	v_or_b32_e32 v4, 0x10000, v2
	s_delay_alu instid0(VALU_DEP_2) | instskip(NEXT) | instid1(VALU_DEP_2)
	v_cmp_eq_u32_e32 vcc_lo, 0, v3
	v_cndmask_b32_e32 v9, v4, v2, vcc_lo
; %bb.125:
	s_or_b32 exec_lo, exec_lo, s7
	scratch_load_b32 v2, off, off offset:44
	s_mov_b32 s7, exec_lo
                                        ; implicit-def: $vgpr12
	s_waitcnt vmcnt(0)
	v_and_b32_e32 v3, 0x7f800000, v2
	s_delay_alu instid0(VALU_DEP_1)
	v_cmpx_ne_u32_e32 0x7f800000, v3
	s_xor_b32 s7, exec_lo, s7
; %bb.126:
	v_bfe_u32 v3, v2, 16, 1
	s_delay_alu instid0(VALU_DEP_1)
	v_add3_u32 v12, v2, v3, 0x7fff
                                        ; implicit-def: $vgpr2
; %bb.127:
	s_and_not1_saveexec_b32 s7, s7
; %bb.128:
	v_and_b32_e32 v3, 0xffff, v2
	v_or_b32_e32 v4, 0x10000, v2
	s_delay_alu instid0(VALU_DEP_2) | instskip(NEXT) | instid1(VALU_DEP_2)
	v_cmp_eq_u32_e32 vcc_lo, 0, v3
	v_cndmask_b32_e32 v12, v4, v2, vcc_lo
; %bb.129:
	s_or_b32 exec_lo, exec_lo, s7
	s_ashr_i32 s7, s6, 31
	s_mul_hi_u32 s11, s2, s6
	s_mul_i32 s7, s2, s7
	s_mul_i32 s12, s3, s6
	s_add_i32 s7, s11, s7
	s_mul_i32 s6, s2, s6
	s_add_i32 s7, s7, s12
	v_and_b32_e32 v9, 0xffff0000, v9
	s_lshl_b64 s[6:7], s[6:7], 1
	v_and_b32_e32 v10, 0xffff0000, v1
	v_add_co_u32 v4, vcc_lo, v6, s6
	v_add_co_ci_u32_e32 v5, vcc_lo, s7, v7, vcc_lo
	v_and_b32_e32 v11, 0xffff0000, v0
	v_and_b32_e32 v12, 0xffff0000, v12
	s_mov_b32 s6, 0
	global_load_b64 v[2:3], v[4:5], off
	s_branch .LBB6_131
.LBB6_130:                              ;   in Loop: Header=BB6_131 Depth=1
	s_or_b32 exec_lo, exec_lo, s7
	v_lshrrev_b32_e32 v1, 16, v1
	s_delay_alu instid0(VALU_DEP_2) | instskip(SKIP_1) | instid1(VALU_DEP_2)
	v_and_b32_e32 v14, 0xffff0000, v15
	v_lshrrev_b32_e32 v0, 16, v0
	v_or_b32_e32 v1, v14, v1
	s_delay_alu instid0(VALU_DEP_2)
	v_and_or_b32 v0, 0xffff0000, v13, v0
	global_atomic_cmpswap_b64 v[0:1], v[4:5], v[0:3], off glc
	s_waitcnt vmcnt(0)
	v_cmp_eq_u64_e32 vcc_lo, v[0:1], v[2:3]
	v_dual_mov_b32 v3, v1 :: v_dual_mov_b32 v2, v0
	s_or_b32 s6, vcc_lo, s6
	s_delay_alu instid0(SALU_CYCLE_1)
	s_and_not1_b32 exec_lo, exec_lo, s6
	s_cbranch_execz .LBB6_147
.LBB6_131:                              ; =>This Inner Loop Header: Depth=1
	s_waitcnt vmcnt(0)
	v_lshlrev_b32_e32 v0, 16, v2
	s_delay_alu instid0(VALU_DEP_1) | instskip(NEXT) | instid1(VALU_DEP_1)
	v_add_f32_e32 v1, v11, v0
	v_and_b32_e32 v0, 0x7f800000, v1
	s_delay_alu instid0(VALU_DEP_1) | instskip(SKIP_1) | instid1(SALU_CYCLE_1)
	v_cmp_ne_u32_e32 vcc_lo, 0x7f800000, v0
                                        ; implicit-def: $vgpr0
	s_and_saveexec_b32 s7, vcc_lo
	s_xor_b32 s7, exec_lo, s7
; %bb.132:                              ;   in Loop: Header=BB6_131 Depth=1
	v_bfe_u32 v0, v1, 16, 1
	s_delay_alu instid0(VALU_DEP_1)
	v_add3_u32 v0, v1, v0, 0x7fff
                                        ; implicit-def: $vgpr1
; %bb.133:                              ;   in Loop: Header=BB6_131 Depth=1
	s_and_not1_saveexec_b32 s7, s7
; %bb.134:                              ;   in Loop: Header=BB6_131 Depth=1
	v_and_b32_e32 v0, 0xffff, v1
	v_or_b32_e32 v13, 0x10000, v1
	s_delay_alu instid0(VALU_DEP_2) | instskip(NEXT) | instid1(VALU_DEP_2)
	v_cmp_eq_u32_e32 vcc_lo, 0, v0
	v_cndmask_b32_e32 v0, v13, v1, vcc_lo
; %bb.135:                              ;   in Loop: Header=BB6_131 Depth=1
	s_or_b32 exec_lo, exec_lo, s7
	v_and_b32_e32 v1, 0xffff0000, v2
	s_delay_alu instid0(VALU_DEP_1) | instskip(NEXT) | instid1(VALU_DEP_1)
	v_add_f32_e32 v1, v10, v1
	v_and_b32_e32 v13, 0x7f800000, v1
	s_delay_alu instid0(VALU_DEP_1) | instskip(SKIP_1) | instid1(SALU_CYCLE_1)
	v_cmp_ne_u32_e32 vcc_lo, 0x7f800000, v13
                                        ; implicit-def: $vgpr13
	s_and_saveexec_b32 s7, vcc_lo
	s_xor_b32 s7, exec_lo, s7
; %bb.136:                              ;   in Loop: Header=BB6_131 Depth=1
	v_bfe_u32 v13, v1, 16, 1
	s_delay_alu instid0(VALU_DEP_1)
	v_add3_u32 v13, v1, v13, 0x7fff
                                        ; implicit-def: $vgpr1
; %bb.137:                              ;   in Loop: Header=BB6_131 Depth=1
	s_and_not1_saveexec_b32 s7, s7
; %bb.138:                              ;   in Loop: Header=BB6_131 Depth=1
	v_and_b32_e32 v13, 0xffff, v1
	v_or_b32_e32 v14, 0x10000, v1
	s_delay_alu instid0(VALU_DEP_2) | instskip(NEXT) | instid1(VALU_DEP_2)
	v_cmp_eq_u32_e32 vcc_lo, 0, v13
	v_cndmask_b32_e32 v13, v14, v1, vcc_lo
; %bb.139:                              ;   in Loop: Header=BB6_131 Depth=1
	s_or_b32 exec_lo, exec_lo, s7
	v_alignbit_b32 v1, v3, v2, 16
	s_delay_alu instid0(VALU_DEP_1) | instskip(NEXT) | instid1(VALU_DEP_1)
	v_and_b32_e32 v1, 0xffff0000, v1
	v_add_f32_e32 v14, v9, v1
	s_delay_alu instid0(VALU_DEP_1) | instskip(NEXT) | instid1(VALU_DEP_1)
	v_and_b32_e32 v1, 0x7f800000, v14
	v_cmp_ne_u32_e32 vcc_lo, 0x7f800000, v1
                                        ; implicit-def: $vgpr1
	s_and_saveexec_b32 s7, vcc_lo
	s_delay_alu instid0(SALU_CYCLE_1)
	s_xor_b32 s7, exec_lo, s7
; %bb.140:                              ;   in Loop: Header=BB6_131 Depth=1
	v_bfe_u32 v1, v14, 16, 1
	s_delay_alu instid0(VALU_DEP_1)
	v_add3_u32 v1, v14, v1, 0x7fff
                                        ; implicit-def: $vgpr14
; %bb.141:                              ;   in Loop: Header=BB6_131 Depth=1
	s_and_not1_saveexec_b32 s7, s7
; %bb.142:                              ;   in Loop: Header=BB6_131 Depth=1
	v_and_b32_e32 v1, 0xffff, v14
	v_or_b32_e32 v15, 0x10000, v14
	s_delay_alu instid0(VALU_DEP_2) | instskip(NEXT) | instid1(VALU_DEP_2)
	v_cmp_eq_u32_e32 vcc_lo, 0, v1
	v_cndmask_b32_e32 v1, v15, v14, vcc_lo
; %bb.143:                              ;   in Loop: Header=BB6_131 Depth=1
	s_or_b32 exec_lo, exec_lo, s7
	v_and_b32_e32 v14, 0xffff0000, v3
	s_delay_alu instid0(VALU_DEP_1) | instskip(NEXT) | instid1(VALU_DEP_1)
	v_add_f32_e32 v14, v12, v14
	v_and_b32_e32 v15, 0x7f800000, v14
	s_delay_alu instid0(VALU_DEP_1) | instskip(SKIP_1) | instid1(SALU_CYCLE_1)
	v_cmp_ne_u32_e32 vcc_lo, 0x7f800000, v15
                                        ; implicit-def: $vgpr15
	s_and_saveexec_b32 s7, vcc_lo
	s_xor_b32 s7, exec_lo, s7
; %bb.144:                              ;   in Loop: Header=BB6_131 Depth=1
	v_bfe_u32 v15, v14, 16, 1
	s_delay_alu instid0(VALU_DEP_1)
	v_add3_u32 v15, v14, v15, 0x7fff
                                        ; implicit-def: $vgpr14
; %bb.145:                              ;   in Loop: Header=BB6_131 Depth=1
	s_and_not1_saveexec_b32 s7, s7
	s_cbranch_execz .LBB6_130
; %bb.146:                              ;   in Loop: Header=BB6_131 Depth=1
	v_and_b32_e32 v15, 0xffff, v14
	v_or_b32_e32 v16, 0x10000, v14
	s_delay_alu instid0(VALU_DEP_2) | instskip(NEXT) | instid1(VALU_DEP_2)
	v_cmp_eq_u32_e32 vcc_lo, 0, v15
	v_cndmask_b32_e32 v15, v16, v14, vcc_lo
	s_branch .LBB6_130
.LBB6_147:
	s_or_b32 exec_lo, exec_lo, s6
.LBB6_148:
	s_load_b32 s0, s[0:1], 0xc
	s_waitcnt lgkmcnt(0)
	s_abs_i32 s6, s0
	s_ashr_i32 s1, s0, 31
	s_mul_hi_u32 s7, s6, s10
	s_xor_b32 s8, s1, s8
	s_mul_i32 s10, s7, s9
	s_add_i32 s11, s7, 1
	s_sub_i32 s10, s6, s10
	s_delay_alu instid0(SALU_CYCLE_1)
	s_sub_i32 s12, s10, s9
	s_cmp_ge_u32 s10, s9
	s_cselect_b32 s7, s11, s7
	s_cselect_b32 s10, s12, s10
	s_add_i32 s11, s7, 1
	s_cmp_ge_u32 s10, s9
	s_cselect_b32 s7, s11, s7
	s_delay_alu instid0(SALU_CYCLE_1) | instskip(NEXT) | instid1(SALU_CYCLE_1)
	s_xor_b32 s7, s7, s8
	s_sub_i32 s7, s7, s8
	s_delay_alu instid0(SALU_CYCLE_1)
	s_cmp_ge_i32 s7, s4
	s_cbranch_scc1 .LBB6_187
; %bb.149:
	v_cmp_ne_u32_e32 vcc_lo, 1, v8
	s_cbranch_vccnz .LBB6_151
; %bb.150:
	scratch_load_b128 v[0:3], off, off offset:48
	s_lshl_b64 s[8:9], s[0:1], 2
	s_delay_alu instid0(SALU_CYCLE_1)
	s_add_u32 s8, s24, s8
	s_addc_u32 s9, s25, s9
	s_load_b32 s4, s[8:9], 0x0
	s_waitcnt vmcnt(0) lgkmcnt(0)
	v_dual_mul_f32 v0, s4, v0 :: v_dual_mul_f32 v1, s4, v1
	v_dual_mul_f32 v2, s4, v2 :: v_dual_mul_f32 v3, s4, v3
	scratch_store_b128 off, v[0:3], off offset:48
.LBB6_151:
	s_and_not1_b32 vcc_lo, exec_lo, s5
	s_cbranch_vccnz .LBB6_153
; %bb.152:
	s_abs_i32 s0, s29
	s_delay_alu instid0(SALU_CYCLE_1) | instskip(SKIP_1) | instid1(VALU_DEP_1)
	v_cvt_f32_u32_e32 v0, s0
	s_sub_i32 s5, 0, s0
	v_rcp_iflag_f32_e32 v0, v0
	s_waitcnt_depctr 0xfff
	v_mul_f32_e32 v0, 0x4f7ffffe, v0
	s_delay_alu instid0(VALU_DEP_1) | instskip(NEXT) | instid1(VALU_DEP_1)
	v_cvt_u32_f32_e32 v0, v0
	v_readfirstlane_b32 s4, v0
	s_delay_alu instid0(VALU_DEP_1) | instskip(NEXT) | instid1(SALU_CYCLE_1)
	s_mul_i32 s5, s5, s4
	s_mul_hi_u32 s5, s4, s5
	s_delay_alu instid0(SALU_CYCLE_1) | instskip(SKIP_4) | instid1(SALU_CYCLE_1)
	s_add_i32 s4, s4, s5
	s_ashr_i32 s5, s29, 31
	s_mul_hi_u32 s4, s6, s4
	s_xor_b32 s1, s1, s5
	s_mul_i32 s7, s4, s0
	s_sub_i32 s5, s6, s7
	s_add_i32 s6, s4, 1
	s_sub_i32 s7, s5, s0
	s_cmp_ge_u32 s5, s0
	s_cselect_b32 s4, s6, s4
	s_cselect_b32 s5, s7, s5
	s_add_i32 s6, s4, 1
	s_cmp_ge_u32 s5, s0
	s_cselect_b32 s0, s6, s4
	s_delay_alu instid0(SALU_CYCLE_1) | instskip(NEXT) | instid1(SALU_CYCLE_1)
	s_xor_b32 s0, s0, s1
	s_sub_i32 s0, s0, s1
.LBB6_153:
	scratch_load_b32 v1, off, off offset:48
	s_waitcnt vmcnt(0)
	v_and_b32_e32 v0, 0x7f800000, v1
	s_delay_alu instid0(VALU_DEP_1) | instskip(SKIP_1) | instid1(SALU_CYCLE_1)
	v_cmp_ne_u32_e32 vcc_lo, 0x7f800000, v0
                                        ; implicit-def: $vgpr0
	s_and_saveexec_b32 s1, vcc_lo
	s_xor_b32 s1, exec_lo, s1
; %bb.154:
	v_bfe_u32 v0, v1, 16, 1
	s_delay_alu instid0(VALU_DEP_1)
	v_add3_u32 v0, v1, v0, 0x7fff
                                        ; implicit-def: $vgpr1
; %bb.155:
	s_and_not1_saveexec_b32 s1, s1
; %bb.156:
	v_and_b32_e32 v0, 0xffff, v1
	v_or_b32_e32 v2, 0x10000, v1
	s_delay_alu instid0(VALU_DEP_2) | instskip(NEXT) | instid1(VALU_DEP_2)
	v_cmp_eq_u32_e32 vcc_lo, 0, v0
	v_cndmask_b32_e32 v0, v2, v1, vcc_lo
; %bb.157:
	s_or_b32 exec_lo, exec_lo, s1
	scratch_load_b32 v2, off, off offset:52
	s_waitcnt vmcnt(0)
	v_and_b32_e32 v1, 0x7f800000, v2
	s_delay_alu instid0(VALU_DEP_1) | instskip(SKIP_1) | instid1(SALU_CYCLE_1)
	v_cmp_ne_u32_e32 vcc_lo, 0x7f800000, v1
                                        ; implicit-def: $vgpr1
	s_and_saveexec_b32 s1, vcc_lo
	s_xor_b32 s1, exec_lo, s1
; %bb.158:
	v_bfe_u32 v1, v2, 16, 1
	s_delay_alu instid0(VALU_DEP_1)
	v_add3_u32 v1, v2, v1, 0x7fff
                                        ; implicit-def: $vgpr2
; %bb.159:
	s_and_not1_saveexec_b32 s1, s1
; %bb.160:
	v_and_b32_e32 v1, 0xffff, v2
	v_or_b32_e32 v3, 0x10000, v2
	s_delay_alu instid0(VALU_DEP_2) | instskip(NEXT) | instid1(VALU_DEP_2)
	v_cmp_eq_u32_e32 vcc_lo, 0, v1
	v_cndmask_b32_e32 v1, v3, v2, vcc_lo
; %bb.161:
	s_or_b32 exec_lo, exec_lo, s1
	scratch_load_b32 v2, off, off offset:56
	s_mov_b32 s1, exec_lo
                                        ; implicit-def: $vgpr8
	s_waitcnt vmcnt(0)
	v_and_b32_e32 v3, 0x7f800000, v2
	s_delay_alu instid0(VALU_DEP_1)
	v_cmpx_ne_u32_e32 0x7f800000, v3
	s_xor_b32 s1, exec_lo, s1
; %bb.162:
	v_bfe_u32 v3, v2, 16, 1
	s_delay_alu instid0(VALU_DEP_1)
	v_add3_u32 v8, v2, v3, 0x7fff
                                        ; implicit-def: $vgpr2
; %bb.163:
	s_and_not1_saveexec_b32 s1, s1
; %bb.164:
	v_and_b32_e32 v3, 0xffff, v2
	v_or_b32_e32 v4, 0x10000, v2
	s_delay_alu instid0(VALU_DEP_2) | instskip(NEXT) | instid1(VALU_DEP_2)
	v_cmp_eq_u32_e32 vcc_lo, 0, v3
	v_cndmask_b32_e32 v8, v4, v2, vcc_lo
; %bb.165:
	s_or_b32 exec_lo, exec_lo, s1
	scratch_load_b32 v2, off, off offset:60
	s_mov_b32 s1, exec_lo
                                        ; implicit-def: $vgpr9
	s_waitcnt vmcnt(0)
	v_and_b32_e32 v3, 0x7f800000, v2
	s_delay_alu instid0(VALU_DEP_1)
	v_cmpx_ne_u32_e32 0x7f800000, v3
	s_xor_b32 s1, exec_lo, s1
; %bb.166:
	v_bfe_u32 v3, v2, 16, 1
	s_delay_alu instid0(VALU_DEP_1)
	v_add3_u32 v9, v2, v3, 0x7fff
                                        ; implicit-def: $vgpr2
; %bb.167:
	s_and_not1_saveexec_b32 s1, s1
; %bb.168:
	v_and_b32_e32 v3, 0xffff, v2
	v_or_b32_e32 v4, 0x10000, v2
	s_delay_alu instid0(VALU_DEP_2) | instskip(NEXT) | instid1(VALU_DEP_2)
	v_cmp_eq_u32_e32 vcc_lo, 0, v3
	v_cndmask_b32_e32 v9, v4, v2, vcc_lo
; %bb.169:
	s_or_b32 exec_lo, exec_lo, s1
	s_ashr_i32 s1, s0, 31
	s_mul_hi_u32 s4, s2, s0
	s_mul_i32 s1, s2, s1
	s_mul_i32 s3, s3, s0
	s_add_i32 s1, s4, s1
	s_mul_i32 s0, s2, s0
	s_add_i32 s1, s1, s3
	v_and_b32_e32 v9, 0xffff0000, v9
	s_lshl_b64 s[0:1], s[0:1], 1
	s_delay_alu instid0(SALU_CYCLE_1)
	v_add_co_u32 v4, vcc_lo, v6, s0
	v_add_co_ci_u32_e32 v5, vcc_lo, s1, v7, vcc_lo
	v_and_b32_e32 v6, 0xffff0000, v8
	v_and_b32_e32 v7, 0xffff0000, v1
	;; [unrolled: 1-line block ×3, first 2 shown]
	global_load_b64 v[2:3], v[4:5], off
	s_mov_b32 s0, 0
	s_branch .LBB6_171
.LBB6_170:                              ;   in Loop: Header=BB6_171 Depth=1
	s_or_b32 exec_lo, exec_lo, s1
	v_lshrrev_b32_e32 v1, 16, v1
	s_delay_alu instid0(VALU_DEP_2) | instskip(SKIP_1) | instid1(VALU_DEP_2)
	v_and_b32_e32 v11, 0xffff0000, v12
	v_lshrrev_b32_e32 v0, 16, v0
	v_or_b32_e32 v1, v11, v1
	s_delay_alu instid0(VALU_DEP_2)
	v_and_or_b32 v0, 0xffff0000, v10, v0
	global_atomic_cmpswap_b64 v[0:1], v[4:5], v[0:3], off glc
	s_waitcnt vmcnt(0)
	v_cmp_eq_u64_e32 vcc_lo, v[0:1], v[2:3]
	v_dual_mov_b32 v3, v1 :: v_dual_mov_b32 v2, v0
	s_or_b32 s0, vcc_lo, s0
	s_delay_alu instid0(SALU_CYCLE_1)
	s_and_not1_b32 exec_lo, exec_lo, s0
	s_cbranch_execz .LBB6_187
.LBB6_171:                              ; =>This Inner Loop Header: Depth=1
	s_waitcnt vmcnt(0)
	v_lshlrev_b32_e32 v0, 16, v2
	s_delay_alu instid0(VALU_DEP_1) | instskip(NEXT) | instid1(VALU_DEP_1)
	v_add_f32_e32 v1, v8, v0
	v_and_b32_e32 v0, 0x7f800000, v1
	s_delay_alu instid0(VALU_DEP_1) | instskip(SKIP_1) | instid1(SALU_CYCLE_1)
	v_cmp_ne_u32_e32 vcc_lo, 0x7f800000, v0
                                        ; implicit-def: $vgpr0
	s_and_saveexec_b32 s1, vcc_lo
	s_xor_b32 s1, exec_lo, s1
; %bb.172:                              ;   in Loop: Header=BB6_171 Depth=1
	v_bfe_u32 v0, v1, 16, 1
	s_delay_alu instid0(VALU_DEP_1)
	v_add3_u32 v0, v1, v0, 0x7fff
                                        ; implicit-def: $vgpr1
; %bb.173:                              ;   in Loop: Header=BB6_171 Depth=1
	s_and_not1_saveexec_b32 s1, s1
; %bb.174:                              ;   in Loop: Header=BB6_171 Depth=1
	v_and_b32_e32 v0, 0xffff, v1
	v_or_b32_e32 v10, 0x10000, v1
	s_delay_alu instid0(VALU_DEP_2) | instskip(NEXT) | instid1(VALU_DEP_2)
	v_cmp_eq_u32_e32 vcc_lo, 0, v0
	v_cndmask_b32_e32 v0, v10, v1, vcc_lo
; %bb.175:                              ;   in Loop: Header=BB6_171 Depth=1
	s_or_b32 exec_lo, exec_lo, s1
	v_and_b32_e32 v1, 0xffff0000, v2
	s_delay_alu instid0(VALU_DEP_1) | instskip(NEXT) | instid1(VALU_DEP_1)
	v_add_f32_e32 v1, v7, v1
	v_and_b32_e32 v10, 0x7f800000, v1
	s_delay_alu instid0(VALU_DEP_1) | instskip(SKIP_1) | instid1(SALU_CYCLE_1)
	v_cmp_ne_u32_e32 vcc_lo, 0x7f800000, v10
                                        ; implicit-def: $vgpr10
	s_and_saveexec_b32 s1, vcc_lo
	s_xor_b32 s1, exec_lo, s1
; %bb.176:                              ;   in Loop: Header=BB6_171 Depth=1
	v_bfe_u32 v10, v1, 16, 1
	s_delay_alu instid0(VALU_DEP_1)
	v_add3_u32 v10, v1, v10, 0x7fff
                                        ; implicit-def: $vgpr1
; %bb.177:                              ;   in Loop: Header=BB6_171 Depth=1
	s_and_not1_saveexec_b32 s1, s1
; %bb.178:                              ;   in Loop: Header=BB6_171 Depth=1
	v_and_b32_e32 v10, 0xffff, v1
	v_or_b32_e32 v11, 0x10000, v1
	s_delay_alu instid0(VALU_DEP_2) | instskip(NEXT) | instid1(VALU_DEP_2)
	v_cmp_eq_u32_e32 vcc_lo, 0, v10
	v_cndmask_b32_e32 v10, v11, v1, vcc_lo
; %bb.179:                              ;   in Loop: Header=BB6_171 Depth=1
	s_or_b32 exec_lo, exec_lo, s1
	v_alignbit_b32 v1, v3, v2, 16
	s_delay_alu instid0(VALU_DEP_1) | instskip(NEXT) | instid1(VALU_DEP_1)
	v_and_b32_e32 v1, 0xffff0000, v1
	v_add_f32_e32 v11, v6, v1
	s_delay_alu instid0(VALU_DEP_1) | instskip(NEXT) | instid1(VALU_DEP_1)
	v_and_b32_e32 v1, 0x7f800000, v11
	v_cmp_ne_u32_e32 vcc_lo, 0x7f800000, v1
                                        ; implicit-def: $vgpr1
	s_and_saveexec_b32 s1, vcc_lo
	s_delay_alu instid0(SALU_CYCLE_1)
	s_xor_b32 s1, exec_lo, s1
; %bb.180:                              ;   in Loop: Header=BB6_171 Depth=1
	v_bfe_u32 v1, v11, 16, 1
	s_delay_alu instid0(VALU_DEP_1)
	v_add3_u32 v1, v11, v1, 0x7fff
                                        ; implicit-def: $vgpr11
; %bb.181:                              ;   in Loop: Header=BB6_171 Depth=1
	s_and_not1_saveexec_b32 s1, s1
; %bb.182:                              ;   in Loop: Header=BB6_171 Depth=1
	v_and_b32_e32 v1, 0xffff, v11
	v_or_b32_e32 v12, 0x10000, v11
	s_delay_alu instid0(VALU_DEP_2) | instskip(NEXT) | instid1(VALU_DEP_2)
	v_cmp_eq_u32_e32 vcc_lo, 0, v1
	v_cndmask_b32_e32 v1, v12, v11, vcc_lo
; %bb.183:                              ;   in Loop: Header=BB6_171 Depth=1
	s_or_b32 exec_lo, exec_lo, s1
	v_and_b32_e32 v11, 0xffff0000, v3
	s_delay_alu instid0(VALU_DEP_1) | instskip(NEXT) | instid1(VALU_DEP_1)
	v_add_f32_e32 v11, v9, v11
	v_and_b32_e32 v12, 0x7f800000, v11
	s_delay_alu instid0(VALU_DEP_1) | instskip(SKIP_1) | instid1(SALU_CYCLE_1)
	v_cmp_ne_u32_e32 vcc_lo, 0x7f800000, v12
                                        ; implicit-def: $vgpr12
	s_and_saveexec_b32 s1, vcc_lo
	s_xor_b32 s1, exec_lo, s1
; %bb.184:                              ;   in Loop: Header=BB6_171 Depth=1
	v_bfe_u32 v12, v11, 16, 1
	s_delay_alu instid0(VALU_DEP_1)
	v_add3_u32 v12, v11, v12, 0x7fff
                                        ; implicit-def: $vgpr11
; %bb.185:                              ;   in Loop: Header=BB6_171 Depth=1
	s_and_not1_saveexec_b32 s1, s1
	s_cbranch_execz .LBB6_170
; %bb.186:                              ;   in Loop: Header=BB6_171 Depth=1
	v_and_b32_e32 v12, 0xffff, v11
	v_or_b32_e32 v13, 0x10000, v11
	s_delay_alu instid0(VALU_DEP_2) | instskip(NEXT) | instid1(VALU_DEP_2)
	v_cmp_eq_u32_e32 vcc_lo, 0, v12
	v_cndmask_b32_e32 v12, v13, v11, vcc_lo
	s_branch .LBB6_170
.LBB6_187:
	s_endpgm
	.section	.rodata,"a",@progbits
	.p2align	6, 0x0
	.amdhsa_kernel _ZN4vllm14moe_gptq_rdna324moe_gemm_q4_kernel_rdna3I14__hip_bfloat16Li4EEEvPKT_PS3_PKjS5_S8_PKfPKiSC_SC_iiiiiiiibi
		.amdhsa_group_segment_fixed_size 18496
		.amdhsa_private_segment_fixed_size 80
		.amdhsa_kernarg_size 112
		.amdhsa_user_sgpr_count 13
		.amdhsa_user_sgpr_dispatch_ptr 1
		.amdhsa_user_sgpr_queue_ptr 0
		.amdhsa_user_sgpr_kernarg_segment_ptr 1
		.amdhsa_user_sgpr_dispatch_id 0
		.amdhsa_user_sgpr_private_segment_size 0
		.amdhsa_wavefront_size32 1
		.amdhsa_uses_dynamic_stack 0
		.amdhsa_enable_private_segment 1
		.amdhsa_system_sgpr_workgroup_id_x 1
		.amdhsa_system_sgpr_workgroup_id_y 1
		.amdhsa_system_sgpr_workgroup_id_z 1
		.amdhsa_system_sgpr_workgroup_info 0
		.amdhsa_system_vgpr_workitem_id 2
		.amdhsa_next_free_vgpr 54
		.amdhsa_next_free_sgpr 43
		.amdhsa_reserve_vcc 1
		.amdhsa_float_round_mode_32 0
		.amdhsa_float_round_mode_16_64 0
		.amdhsa_float_denorm_mode_32 3
		.amdhsa_float_denorm_mode_16_64 3
		.amdhsa_dx10_clamp 1
		.amdhsa_ieee_mode 1
		.amdhsa_fp16_overflow 0
		.amdhsa_workgroup_processor_mode 1
		.amdhsa_memory_ordered 1
		.amdhsa_forward_progress 0
		.amdhsa_shared_vgpr_count 0
		.amdhsa_exception_fp_ieee_invalid_op 0
		.amdhsa_exception_fp_denorm_src 0
		.amdhsa_exception_fp_ieee_div_zero 0
		.amdhsa_exception_fp_ieee_overflow 0
		.amdhsa_exception_fp_ieee_underflow 0
		.amdhsa_exception_fp_ieee_inexact 0
		.amdhsa_exception_int_div_zero 0
	.end_amdhsa_kernel
	.section	.text._ZN4vllm14moe_gptq_rdna324moe_gemm_q4_kernel_rdna3I14__hip_bfloat16Li4EEEvPKT_PS3_PKjS5_S8_PKfPKiSC_SC_iiiiiiiibi,"axG",@progbits,_ZN4vllm14moe_gptq_rdna324moe_gemm_q4_kernel_rdna3I14__hip_bfloat16Li4EEEvPKT_PS3_PKjS5_S8_PKfPKiSC_SC_iiiiiiiibi,comdat
.Lfunc_end6:
	.size	_ZN4vllm14moe_gptq_rdna324moe_gemm_q4_kernel_rdna3I14__hip_bfloat16Li4EEEvPKT_PS3_PKjS5_S8_PKfPKiSC_SC_iiiiiiiibi, .Lfunc_end6-_ZN4vllm14moe_gptq_rdna324moe_gemm_q4_kernel_rdna3I14__hip_bfloat16Li4EEEvPKT_PS3_PKjS5_S8_PKfPKiSC_SC_iiiiiiiibi
                                        ; -- End function
	.section	.AMDGPU.csdata,"",@progbits
; Kernel info:
; codeLenInByte = 10480
; NumSgprs: 45
; NumVgprs: 54
; ScratchSize: 80
; MemoryBound: 0
; FloatMode: 240
; IeeeMode: 1
; LDSByteSize: 18496 bytes/workgroup (compile time only)
; SGPRBlocks: 5
; VGPRBlocks: 6
; NumSGPRsForWavesPerEU: 45
; NumVGPRsForWavesPerEU: 54
; Occupancy: 16
; WaveLimiterHint : 1
; COMPUTE_PGM_RSRC2:SCRATCH_EN: 1
; COMPUTE_PGM_RSRC2:USER_SGPR: 13
; COMPUTE_PGM_RSRC2:TRAP_HANDLER: 0
; COMPUTE_PGM_RSRC2:TGID_X_EN: 1
; COMPUTE_PGM_RSRC2:TGID_Y_EN: 1
; COMPUTE_PGM_RSRC2:TGID_Z_EN: 1
; COMPUTE_PGM_RSRC2:TIDIG_COMP_CNT: 2
	.section	.text._ZN4vllm14moe_gptq_rdna324moe_gemm_q4_kernel_rdna3I14__hip_bfloat16Li8EEEvPKT_PS3_PKjS5_S8_PKfPKiSC_SC_iiiiiiiibi,"axG",@progbits,_ZN4vllm14moe_gptq_rdna324moe_gemm_q4_kernel_rdna3I14__hip_bfloat16Li8EEEvPKT_PS3_PKjS5_S8_PKfPKiSC_SC_iiiiiiiibi,comdat
	.protected	_ZN4vllm14moe_gptq_rdna324moe_gemm_q4_kernel_rdna3I14__hip_bfloat16Li8EEEvPKT_PS3_PKjS5_S8_PKfPKiSC_SC_iiiiiiiibi ; -- Begin function _ZN4vllm14moe_gptq_rdna324moe_gemm_q4_kernel_rdna3I14__hip_bfloat16Li8EEEvPKT_PS3_PKjS5_S8_PKfPKiSC_SC_iiiiiiiibi
	.globl	_ZN4vllm14moe_gptq_rdna324moe_gemm_q4_kernel_rdna3I14__hip_bfloat16Li8EEEvPKT_PS3_PKjS5_S8_PKfPKiSC_SC_iiiiiiiibi
	.p2align	8
	.type	_ZN4vllm14moe_gptq_rdna324moe_gemm_q4_kernel_rdna3I14__hip_bfloat16Li8EEEvPKT_PS3_PKjS5_S8_PKfPKiSC_SC_iiiiiiiibi,@function
_ZN4vllm14moe_gptq_rdna324moe_gemm_q4_kernel_rdna3I14__hip_bfloat16Li8EEEvPKT_PS3_PKjS5_S8_PKfPKiSC_SC_iiiiiiiibi: ; @_ZN4vllm14moe_gptq_rdna324moe_gemm_q4_kernel_rdna3I14__hip_bfloat16Li8EEEvPKT_PS3_PKjS5_S8_PKfPKiSC_SC_iiiiiiiibi
; %bb.0:
	s_load_b64 s[6:7], s[2:3], 0x40
	s_lshl_b32 s30, s13, 3
	s_waitcnt lgkmcnt(0)
	s_load_b32 s5, s[6:7], 0x0
	s_waitcnt lgkmcnt(0)
	s_cmp_ge_i32 s30, s5
	s_cbranch_scc1 .LBB7_355
; %bb.1:
	s_load_b64 s[6:7], s[2:3], 0x38
	s_mov_b32 s4, s13
	s_ashr_i32 s5, s13, 31
	s_delay_alu instid0(SALU_CYCLE_1)
	s_lshl_b64 s[4:5], s[4:5], 2
	s_waitcnt lgkmcnt(0)
	s_add_u32 s4, s6, s4
	s_addc_u32 s5, s7, s5
	s_load_b32 s36, s[4:5], 0x0
	s_waitcnt lgkmcnt(0)
	s_cmp_eq_u32 s36, -1
	s_cbranch_scc1 .LBB7_355
; %bb.2:
	s_clause 0x3
	s_load_b256 s[4:11], s[2:3], 0x48
	s_load_b256 s[16:23], s[2:3], 0x8
	s_load_b128 s[24:27], s[2:3], 0x28
	s_load_b64 s[28:29], s[2:3], 0x68
	v_and_b32_e32 v3, 0x3ff, v0
	s_lshl_b32 s34, s15, 8
	s_delay_alu instid0(SALU_CYCLE_1) | instskip(NEXT) | instid1(VALU_DEP_1)
	s_add_i32 s12, s34, 0x100
	v_add_nc_u32_e32 v1, s34, v3
	s_waitcnt lgkmcnt(0)
	s_min_i32 s33, s12, s6
	s_mov_b32 s12, exec_lo
	s_delay_alu instid0(VALU_DEP_1)
	v_cmpx_gt_i32_e64 s33, v1
	s_cbranch_execz .LBB7_20
; %bb.3:
	s_load_b64 s[2:3], s[2:3], 0x0
	s_ashr_i32 s35, s34, 31
	v_mov_b32_e32 v5, 0
	s_lshl_b64 s[38:39], s[34:35], 1
	v_mov_b32_e32 v6, 0
	s_waitcnt lgkmcnt(0)
	s_add_u32 s35, s2, s38
	s_addc_u32 s37, s3, s39
	s_ashr_i32 s31, s30, 31
	s_delay_alu instid0(SALU_CYCLE_1) | instskip(NEXT) | instid1(SALU_CYCLE_1)
	s_lshl_b64 s[2:3], s[30:31], 2
	s_add_u32 s2, s26, s2
	s_addc_u32 s3, s27, s3
	s_abs_i32 s13, s8
	s_load_b32 s38, s[2:3], 0x0
	v_cvt_f32_u32_e32 v1, s13
	s_sub_i32 s15, 0, s13
	s_delay_alu instid0(VALU_DEP_1) | instskip(SKIP_4) | instid1(VALU_DEP_1)
	v_rcp_iflag_f32_e32 v1, v1
	s_waitcnt_depctr 0xfff
	v_mul_f32_e32 v1, 0x4f7ffffe, v1
	s_waitcnt lgkmcnt(0)
	s_abs_i32 s39, s38
	v_cvt_u32_f32_e32 v1, v1
	s_ashr_i32 s38, s38, 31
	s_delay_alu instid0(VALU_DEP_1) | instskip(SKIP_1) | instid1(VALU_DEP_2)
	v_readfirstlane_b32 s31, v1
	v_lshlrev_b32_e32 v1, 1, v3
	s_mul_i32 s15, s15, s31
	s_delay_alu instid0(VALU_DEP_1)
	v_add_co_u32 v2, s35, s35, v1
	s_mul_hi_u32 s15, s31, s15
	v_add_co_ci_u32_e64 v4, null, s37, 0, s35
	s_add_i32 s31, s31, s15
	s_ashr_i32 s15, s8, 31
	s_mul_hi_u32 s40, s39, s31
	s_xor_b32 s38, s38, s15
	s_mul_i32 s41, s40, s13
	s_delay_alu instid0(SALU_CYCLE_1)
	s_sub_i32 s39, s39, s41
	s_add_i32 s41, s40, 1
	s_sub_i32 s42, s39, s13
	s_cmp_ge_u32 s39, s13
	s_cselect_b32 s40, s41, s40
	s_cselect_b32 s39, s42, s39
	s_add_i32 s41, s40, 1
	s_cmp_ge_u32 s39, s13
	s_cselect_b32 s39, s41, s40
	s_delay_alu instid0(SALU_CYCLE_1) | instskip(NEXT) | instid1(SALU_CYCLE_1)
	s_xor_b32 s39, s39, s38
	s_sub_i32 s35, s39, s38
	s_delay_alu instid0(SALU_CYCLE_1)
	s_cmp_ge_i32 s35, s4
	s_cbranch_scc1 .LBB7_5
; %bb.4:
	s_mul_hi_i32 s39, s35, s6
	s_mul_i32 s38, s35, s6
	s_delay_alu instid0(SALU_CYCLE_1) | instskip(NEXT) | instid1(SALU_CYCLE_1)
	s_lshl_b64 s[38:39], s[38:39], 1
	v_add_co_u32 v6, vcc_lo, v2, s38
	v_add_co_ci_u32_e32 v7, vcc_lo, s39, v4, vcc_lo
	global_load_u16 v6, v[6:7], off
.LBB7_5:
	s_load_b32 s35, s[2:3], 0x4
	s_waitcnt vmcnt(0)
	ds_store_b16 v1, v6
	s_waitcnt lgkmcnt(0)
	s_abs_i32 s37, s35
	s_ashr_i32 s35, s35, 31
	s_mul_hi_u32 s38, s37, s31
	s_xor_b32 s35, s35, s15
	s_mul_i32 s39, s38, s13
	s_delay_alu instid0(SALU_CYCLE_1)
	s_sub_i32 s37, s37, s39
	s_add_i32 s39, s38, 1
	s_sub_i32 s40, s37, s13
	s_cmp_ge_u32 s37, s13
	s_cselect_b32 s38, s39, s38
	s_cselect_b32 s37, s40, s37
	s_add_i32 s39, s38, 1
	s_cmp_ge_u32 s37, s13
	s_cselect_b32 s37, s39, s38
	s_delay_alu instid0(SALU_CYCLE_1) | instskip(NEXT) | instid1(SALU_CYCLE_1)
	s_xor_b32 s37, s37, s35
	s_sub_i32 s35, s37, s35
	s_delay_alu instid0(SALU_CYCLE_1)
	s_cmp_ge_i32 s35, s4
	s_cbranch_scc1 .LBB7_7
; %bb.6:
	s_mul_hi_i32 s39, s35, s6
	s_mul_i32 s38, s35, s6
	s_delay_alu instid0(SALU_CYCLE_1) | instskip(NEXT) | instid1(SALU_CYCLE_1)
	s_lshl_b64 s[38:39], s[38:39], 1
	v_add_co_u32 v5, vcc_lo, v2, s38
	v_add_co_ci_u32_e32 v6, vcc_lo, s39, v4, vcc_lo
	global_load_u16 v5, v[5:6], off
.LBB7_7:
	s_load_b32 s35, s[2:3], 0x8
	v_dual_mov_b32 v6, 0 :: v_dual_mov_b32 v7, 0
	s_waitcnt vmcnt(0)
	ds_store_b16 v1, v5 offset:528
	s_waitcnt lgkmcnt(0)
	s_abs_i32 s37, s35
	s_ashr_i32 s35, s35, 31
	s_mul_hi_u32 s38, s37, s31
	s_xor_b32 s35, s35, s15
	s_mul_i32 s39, s38, s13
	s_delay_alu instid0(SALU_CYCLE_1)
	s_sub_i32 s37, s37, s39
	s_add_i32 s39, s38, 1
	s_sub_i32 s40, s37, s13
	s_cmp_ge_u32 s37, s13
	s_cselect_b32 s38, s39, s38
	s_cselect_b32 s37, s40, s37
	s_add_i32 s39, s38, 1
	s_cmp_ge_u32 s37, s13
	s_cselect_b32 s37, s39, s38
	s_delay_alu instid0(SALU_CYCLE_1) | instskip(NEXT) | instid1(SALU_CYCLE_1)
	s_xor_b32 s37, s37, s35
	s_sub_i32 s35, s37, s35
	s_delay_alu instid0(SALU_CYCLE_1)
	s_cmp_ge_i32 s35, s4
	s_cbranch_scc1 .LBB7_9
; %bb.8:
	s_mul_hi_i32 s39, s35, s6
	s_mul_i32 s38, s35, s6
	s_delay_alu instid0(SALU_CYCLE_1) | instskip(NEXT) | instid1(SALU_CYCLE_1)
	s_lshl_b64 s[38:39], s[38:39], 1
	v_add_co_u32 v7, vcc_lo, v2, s38
	v_add_co_ci_u32_e32 v8, vcc_lo, s39, v4, vcc_lo
	global_load_u16 v7, v[7:8], off
.LBB7_9:
	s_load_b32 s35, s[2:3], 0xc
	s_waitcnt vmcnt(0)
	ds_store_b16 v1, v7 offset:1056
	s_waitcnt lgkmcnt(0)
	s_abs_i32 s37, s35
	s_ashr_i32 s35, s35, 31
	s_mul_hi_u32 s38, s37, s31
	s_xor_b32 s35, s35, s15
	s_mul_i32 s39, s38, s13
	s_delay_alu instid0(SALU_CYCLE_1)
	s_sub_i32 s37, s37, s39
	s_add_i32 s39, s38, 1
	s_sub_i32 s40, s37, s13
	s_cmp_ge_u32 s37, s13
	s_cselect_b32 s38, s39, s38
	s_cselect_b32 s37, s40, s37
	s_add_i32 s39, s38, 1
	s_cmp_ge_u32 s37, s13
	s_cselect_b32 s37, s39, s38
	s_delay_alu instid0(SALU_CYCLE_1) | instskip(NEXT) | instid1(SALU_CYCLE_1)
	s_xor_b32 s37, s37, s35
	s_sub_i32 s35, s37, s35
	s_delay_alu instid0(SALU_CYCLE_1)
	s_cmp_ge_i32 s35, s4
	s_cbranch_scc1 .LBB7_11
; %bb.10:
	s_mul_hi_i32 s39, s35, s6
	s_mul_i32 s38, s35, s6
	s_delay_alu instid0(SALU_CYCLE_1) | instskip(NEXT) | instid1(SALU_CYCLE_1)
	s_lshl_b64 s[38:39], s[38:39], 1
	v_add_co_u32 v5, vcc_lo, v2, s38
	v_add_co_ci_u32_e32 v6, vcc_lo, s39, v4, vcc_lo
	global_load_u16 v6, v[5:6], off
.LBB7_11:
	s_load_b32 s35, s[2:3], 0x10
	v_mov_b32_e32 v5, 0
	v_mov_b32_e32 v7, 0
	s_waitcnt vmcnt(0)
	ds_store_b16 v1, v6 offset:1584
	s_waitcnt lgkmcnt(0)
	s_abs_i32 s37, s35
	s_ashr_i32 s35, s35, 31
	s_mul_hi_u32 s38, s37, s31
	s_xor_b32 s35, s35, s15
	s_mul_i32 s39, s38, s13
	s_delay_alu instid0(SALU_CYCLE_1)
	s_sub_i32 s37, s37, s39
	s_add_i32 s39, s38, 1
	s_sub_i32 s40, s37, s13
	s_cmp_ge_u32 s37, s13
	s_cselect_b32 s38, s39, s38
	s_cselect_b32 s37, s40, s37
	s_add_i32 s39, s38, 1
	s_cmp_ge_u32 s37, s13
	s_cselect_b32 s37, s39, s38
	s_delay_alu instid0(SALU_CYCLE_1) | instskip(NEXT) | instid1(SALU_CYCLE_1)
	s_xor_b32 s37, s37, s35
	s_sub_i32 s35, s37, s35
	s_delay_alu instid0(SALU_CYCLE_1)
	s_cmp_ge_i32 s35, s4
	s_cbranch_scc1 .LBB7_13
; %bb.12:
	s_mul_hi_i32 s39, s35, s6
	s_mul_i32 s38, s35, s6
	s_delay_alu instid0(SALU_CYCLE_1) | instskip(NEXT) | instid1(SALU_CYCLE_1)
	s_lshl_b64 s[38:39], s[38:39], 1
	v_add_co_u32 v6, vcc_lo, v2, s38
	v_add_co_ci_u32_e32 v7, vcc_lo, s39, v4, vcc_lo
	global_load_u16 v7, v[6:7], off
.LBB7_13:
	s_load_b32 s35, s[2:3], 0x14
	s_waitcnt vmcnt(0)
	ds_store_b16 v1, v7 offset:2112
	s_waitcnt lgkmcnt(0)
	s_abs_i32 s37, s35
	s_ashr_i32 s35, s35, 31
	s_mul_hi_u32 s38, s37, s31
	s_xor_b32 s35, s35, s15
	s_mul_i32 s39, s38, s13
	s_delay_alu instid0(SALU_CYCLE_1)
	s_sub_i32 s37, s37, s39
	s_add_i32 s39, s38, 1
	s_sub_i32 s40, s37, s13
	s_cmp_ge_u32 s37, s13
	s_cselect_b32 s38, s39, s38
	s_cselect_b32 s37, s40, s37
	s_add_i32 s39, s38, 1
	s_cmp_ge_u32 s37, s13
	s_cselect_b32 s37, s39, s38
	s_delay_alu instid0(SALU_CYCLE_1) | instskip(NEXT) | instid1(SALU_CYCLE_1)
	s_xor_b32 s37, s37, s35
	s_sub_i32 s35, s37, s35
	s_delay_alu instid0(SALU_CYCLE_1)
	s_cmp_ge_i32 s35, s4
	s_cbranch_scc1 .LBB7_15
; %bb.14:
	s_mul_hi_i32 s39, s35, s6
	s_mul_i32 s38, s35, s6
	s_delay_alu instid0(SALU_CYCLE_1) | instskip(NEXT) | instid1(SALU_CYCLE_1)
	s_lshl_b64 s[38:39], s[38:39], 1
	v_add_co_u32 v5, vcc_lo, v2, s38
	v_add_co_ci_u32_e32 v6, vcc_lo, s39, v4, vcc_lo
	global_load_u16 v5, v[5:6], off
.LBB7_15:
	s_load_b32 s35, s[2:3], 0x18
	v_dual_mov_b32 v6, 0 :: v_dual_mov_b32 v7, 0
	s_waitcnt vmcnt(0)
	ds_store_b16 v1, v5 offset:2640
	s_waitcnt lgkmcnt(0)
	s_abs_i32 s37, s35
	s_ashr_i32 s35, s35, 31
	s_mul_hi_u32 s38, s37, s31
	s_xor_b32 s35, s35, s15
	s_mul_i32 s39, s38, s13
	s_delay_alu instid0(SALU_CYCLE_1)
	s_sub_i32 s37, s37, s39
	s_add_i32 s39, s38, 1
	s_sub_i32 s40, s37, s13
	s_cmp_ge_u32 s37, s13
	s_cselect_b32 s38, s39, s38
	s_cselect_b32 s37, s40, s37
	s_add_i32 s39, s38, 1
	s_cmp_ge_u32 s37, s13
	s_cselect_b32 s37, s39, s38
	s_delay_alu instid0(SALU_CYCLE_1) | instskip(NEXT) | instid1(SALU_CYCLE_1)
	s_xor_b32 s37, s37, s35
	s_sub_i32 s35, s37, s35
	s_delay_alu instid0(SALU_CYCLE_1)
	s_cmp_ge_i32 s35, s4
	s_cbranch_scc1 .LBB7_17
; %bb.16:
	s_mul_hi_i32 s39, s35, s6
	s_mul_i32 s38, s35, s6
	s_delay_alu instid0(SALU_CYCLE_1) | instskip(NEXT) | instid1(SALU_CYCLE_1)
	s_lshl_b64 s[38:39], s[38:39], 1
	v_add_co_u32 v7, vcc_lo, v2, s38
	v_add_co_ci_u32_e32 v8, vcc_lo, s39, v4, vcc_lo
	global_load_u16 v7, v[7:8], off
.LBB7_17:
	s_load_b32 s2, s[2:3], 0x1c
	s_waitcnt vmcnt(0)
	ds_store_b16 v1, v7 offset:3168
	s_waitcnt lgkmcnt(0)
	s_abs_i32 s3, s2
	s_ashr_i32 s2, s2, 31
	s_mul_hi_u32 s31, s3, s31
	s_xor_b32 s2, s2, s15
	s_mul_i32 s35, s31, s13
	s_add_i32 s15, s31, 1
	s_sub_i32 s3, s3, s35
	s_delay_alu instid0(SALU_CYCLE_1)
	s_sub_i32 s35, s3, s13
	s_cmp_ge_u32 s3, s13
	s_cselect_b32 s15, s15, s31
	s_cselect_b32 s3, s35, s3
	s_add_i32 s31, s15, 1
	s_cmp_ge_u32 s3, s13
	s_cselect_b32 s3, s31, s15
	s_delay_alu instid0(SALU_CYCLE_1) | instskip(NEXT) | instid1(SALU_CYCLE_1)
	s_xor_b32 s3, s3, s2
	s_sub_i32 s2, s3, s2
	s_delay_alu instid0(SALU_CYCLE_1)
	s_cmp_ge_i32 s2, s4
	s_cbranch_scc1 .LBB7_19
; %bb.18:
	s_mul_hi_i32 s3, s2, s6
	s_mul_i32 s2, s2, s6
	s_delay_alu instid0(SALU_CYCLE_1) | instskip(NEXT) | instid1(SALU_CYCLE_1)
	s_lshl_b64 s[2:3], s[2:3], 1
	v_add_co_u32 v5, vcc_lo, v2, s2
	v_add_co_ci_u32_e32 v6, vcc_lo, s3, v4, vcc_lo
	global_load_u16 v6, v[5:6], off
.LBB7_19:
	s_waitcnt vmcnt(0)
	ds_store_b16 v1, v6 offset:3696
.LBB7_20:
	s_or_b32 exec_lo, exec_lo, s12
	v_lshlrev_b32_e32 v1, 2, v3
	s_waitcnt lgkmcnt(0)
	s_barrier
	buffer_gl0_inv
	s_mov_b32 s2, exec_lo
	v_lshl_add_u32 v1, s14, 10, v1
	s_delay_alu instid0(VALU_DEP_1)
	v_cmpx_gt_i32_e64 s5, v1
	s_cbranch_execz .LBB7_355
; %bb.21:
	s_abs_i32 s2, s7
	s_abs_i32 s13, s6
	v_cvt_f32_u32_e32 v2, s2
	s_sub_i32 s12, 0, s2
	s_xor_b32 s7, s6, s7
	s_delay_alu instid0(SALU_CYCLE_1) | instskip(NEXT) | instid1(VALU_DEP_1)
	s_ashr_i32 s7, s7, 31
	v_rcp_iflag_f32_e32 v2, v2
	s_waitcnt_depctr 0xfff
	v_mul_f32_e32 v2, 0x4f7ffffe, v2
	s_delay_alu instid0(VALU_DEP_1) | instskip(NEXT) | instid1(VALU_DEP_1)
	v_cvt_u32_f32_e32 v2, v2
	v_readfirstlane_b32 s3, v2
	s_delay_alu instid0(VALU_DEP_1) | instskip(NEXT) | instid1(SALU_CYCLE_1)
	s_mul_i32 s12, s12, s3
	s_mul_hi_u32 s12, s3, s12
	s_delay_alu instid0(SALU_CYCLE_1) | instskip(NEXT) | instid1(SALU_CYCLE_1)
	s_add_i32 s3, s3, s12
	s_mul_hi_u32 s3, s13, s3
	s_delay_alu instid0(SALU_CYCLE_1) | instskip(NEXT) | instid1(SALU_CYCLE_1)
	s_mul_i32 s12, s3, s2
	s_sub_i32 s12, s13, s12
	s_add_i32 s13, s3, 1
	s_sub_i32 s14, s12, s2
	s_cmp_ge_u32 s12, s2
	s_cselect_b32 s3, s13, s3
	s_cselect_b32 s12, s14, s12
	s_add_i32 s13, s3, 1
	s_cmp_ge_u32 s12, s2
	s_mov_b32 s12, 0
	s_cselect_b32 s2, s13, s3
	s_mov_b32 s13, s12
	s_xor_b32 s2, s2, s7
	s_mov_b32 s14, s12
	s_sub_i32 s31, s2, s7
	s_mov_b32 s15, s12
	s_abs_i32 s7, s31
	v_dual_mov_b32 v4, s12 :: v_dual_mov_b32 v5, s13
	v_cvt_f32_u32_e32 v2, s7
	v_mov_b32_e32 v6, s14
	s_cmp_lt_i32 s34, s6
	v_mov_b32_e32 v7, s15
	s_clause 0x3
	scratch_store_b128 off, v[4:7], off
	scratch_store_b128 off, v[4:7], off offset:16
	scratch_store_b128 off, v[4:7], off offset:32
	;; [unrolled: 1-line block ×3, first 2 shown]
	v_rcp_iflag_f32_e32 v2, v2
	s_clause 0x3
	scratch_store_b128 off, v[4:7], off offset:64
	scratch_store_b128 off, v[4:7], off offset:80
	;; [unrolled: 1-line block ×4, first 2 shown]
	v_mul_f32_e32 v8, 0x4f7ffffe, v2
	v_ashrrev_i32_e32 v2, 31, v1
	s_delay_alu instid0(VALU_DEP_2) | instskip(NEXT) | instid1(VALU_DEP_1)
	v_cvt_u32_f32_e32 v8, v8
	v_readfirstlane_b32 s13, v8
	s_cbranch_scc1 .LBB7_23
; %bb.22:
	s_ashr_i32 s3, s5, 31
	s_mov_b32 s2, s5
	v_lshlrev_b64 v[32:33], 1, v[1:2]
	s_and_not1_b32 vcc_lo, exec_lo, s12
	s_cbranch_vccz .LBB7_24
	s_branch .LBB7_36
.LBB7_23:
                                        ; implicit-def: $sgpr2_sgpr3
	s_delay_alu instid0(VALU_DEP_3)
	v_lshlrev_b64 v[32:33], 1, v[1:2]
.LBB7_24:
	s_sub_i32 s2, 0, s7
	s_mul_hi_i32 s3, s36, s10
	s_mul_i32 s2, s2, s13
	s_abs_i32 s6, s34
	s_mul_hi_u32 s12, s13, s2
	s_mul_i32 s2, s36, s10
	s_add_i32 s10, s13, s12
	s_lshl_b64 s[2:3], s[2:3], 1
	s_ashr_i32 s14, s34, 31
	s_ashr_i32 s15, s31, 31
	s_mul_hi_i32 s13, s36, s11
	s_mul_i32 s12, s36, s11
	s_add_u32 s20, s20, s2
	s_addc_u32 s11, s21, s3
	s_lshl_b64 s[2:3], s[12:13], 2
	s_mul_hi_u32 s10, s6, s10
	s_add_u32 s21, s22, s2
	s_mul_i32 s2, s10, s7
	s_addc_u32 s22, s23, s3
	s_sub_i32 s2, s6, s2
	v_lshrrev_b32_e32 v4, 29, v2
	s_xor_b32 s12, s14, s15
	s_add_i32 s3, s10, 1
	s_sub_i32 s6, s2, s7
	s_cmp_ge_u32 s2, s7
	v_add_nc_u32_e32 v4, v1, v4
	s_cselect_b32 s3, s3, s10
	s_cselect_b32 s2, s6, s2
	s_add_i32 s6, s3, 1
	s_cmp_ge_u32 s2, s7
	v_ashrrev_i32_e32 v4, 3, v4
	s_cselect_b32 s2, s6, s3
	s_ashr_i32 s3, s5, 31
	s_xor_b32 s2, s2, s12
	s_lshr_b32 s6, s3, 29
	v_ashrrev_i32_e32 v5, 31, v4
	s_add_i32 s6, s5, s6
	s_sub_i32 s12, s2, s12
	s_ashr_i32 s13, s6, 3
	s_load_b64 s[0:1], s[0:1], 0x4
	s_mul_i32 s6, s12, s13
	v_lshlrev_b64 v[4:5], 2, v[4:5]
	s_ashr_i32 s7, s6, 31
	v_bfe_u32 v10, v0, 10, 10
	s_lshl_b64 s[6:7], s[6:7], 2
	v_bfe_u32 v11, v0, 20, 10
	s_add_u32 s2, s21, s6
	s_addc_u32 s10, s22, s7
	v_add_co_u32 v6, vcc_lo, s2, v4
	v_add_co_ci_u32_e32 v7, vcc_lo, s10, v5, vcc_lo
	s_mul_i32 s6, s12, s5
	v_lshlrev_b64 v[0:1], 2, v[1:2]
	s_ashr_i32 s7, s6, 31
	global_load_b32 v8, v[6:7], off
	s_lshl_b64 s[6:7], s[6:7], 1
	v_dual_mov_b32 v44, 0 :: v_dual_lshlrev_b32 v9, 4, v3
	s_add_u32 s2, s20, s6
	s_addc_u32 s6, s11, s7
	v_add_co_u32 v6, vcc_lo, s2, v32
	v_add_co_ci_u32_e32 v7, vcc_lo, s6, v33, vcc_lo
	s_mul_hi_i32 s7, s36, s9
	s_mul_i32 s6, s36, s9
	v_add_co_u32 v39, vcc_lo, s20, v32
	global_load_b64 v[6:7], v[6:7], off
	s_lshl_b64 s[6:7], s[6:7], 2
	v_add_co_ci_u32_e32 v40, vcc_lo, s11, v33, vcc_lo
	s_add_u32 s9, s18, s6
	s_addc_u32 s10, s19, s7
	s_ashr_i32 s6, s34, 3
	s_waitcnt lgkmcnt(0)
	s_lshr_b32 s0, s0, 16
	s_mul_i32 s6, s6, s5
	s_mul_i32 s11, s0, s1
	s_ashr_i32 s7, s6, 31
	v_mul_u32_u24_e32 v2, s1, v10
	s_lshl_b64 s[0:1], s[6:7], 2
	v_add_co_u32 v41, vcc_lo, s21, v4
	v_mul_lo_u32 v3, s11, v3
	s_add_u32 s9, s9, s0
	v_add_co_ci_u32_e32 v42, vcc_lo, s22, v5, vcc_lo
	v_and_b32_e32 v38, 16, v9
	v_add_co_u32 v34, vcc_lo, s9, v0
	s_addc_u32 s1, s10, s1
	s_lshl_b32 s0, s5, 2
	v_add_co_ci_u32_e32 v35, vcc_lo, s1, v1, vcc_lo
	v_add3_u32 v1, v3, v2, v11
	s_mov_b32 s2, s5
	s_add_i32 s10, s12, 1
	s_ashr_i32 s1, s0, 31
	s_lshl_b64 s[6:7], s[2:3], 2
	v_lshl_add_u32 v43, v1, 4, 0x1080
	s_mul_i32 s9, s10, s31
	s_mov_b32 s14, 0xf000f
	s_lshl_b64 s[10:11], s[0:1], 2
	s_mov_b32 s15, s34
	s_waitcnt vmcnt(1)
	v_lshrrev_b32_e32 v0, v9, v8
	v_bfe_u32 v2, v8, v38, 4
	s_delay_alu instid0(VALU_DEP_2) | instskip(SKIP_2) | instid1(VALU_DEP_4)
	v_bfe_u32 v3, v0, 4, 4
	v_bfe_u32 v4, v0, 8, 4
	;; [unrolled: 1-line block ×3, first 2 shown]
	v_add_nc_u32_e32 v2, 0x81, v2
	s_delay_alu instid0(VALU_DEP_4) | instskip(NEXT) | instid1(VALU_DEP_4)
	v_add_nc_u32_e32 v3, 0x81, v3
	v_add_nc_u32_e32 v4, 0x81, v4
	s_delay_alu instid0(VALU_DEP_4) | instskip(NEXT) | instid1(VALU_DEP_4)
	v_add_nc_u32_e32 v0, 0x81, v0
	v_cvt_f32_ubyte0_e32 v2, v2
	s_waitcnt vmcnt(0)
	v_lshlrev_b32_e32 v45, 16, v6
	v_and_b32_e32 v46, 0xffff0000, v6
	v_lshlrev_b32_e32 v47, 16, v7
	v_and_b32_e32 v48, 0xffff0000, v7
	v_cvt_f32_ubyte0_e32 v3, v3
	v_cvt_f32_ubyte0_e32 v4, v4
	;; [unrolled: 1-line block ×3, first 2 shown]
	v_mul_f32_e64 v49, -v2, v45
	s_delay_alu instid0(VALU_DEP_4) | instskip(NEXT) | instid1(VALU_DEP_4)
	v_mul_f32_e64 v50, -v3, v46
	v_mul_f32_e64 v51, -v4, v47
	s_delay_alu instid0(VALU_DEP_4)
	v_mul_f32_e64 v52, -v0, v48
.LBB7_25:                               ; =>This Loop Header: Depth=1
                                        ;     Child Loop BB7_28 Depth 2
                                        ;     Child Loop BB7_30 Depth 2
                                        ;     Child Loop BB7_32 Depth 2
                                        ;     Child Loop BB7_34 Depth 2
	s_cmp_lg_u32 s15, s9
	s_cbranch_scc1 .LBB7_27
; %bb.26:                               ;   in Loop: Header=BB7_25 Depth=1
	s_add_i32 s12, s12, 1
	s_add_i32 s9, s9, s31
	s_mul_i32 s0, s12, s13
	s_mul_i32 s18, s12, s5
	s_ashr_i32 s1, s0, 31
	s_ashr_i32 s19, s18, 31
	s_lshl_b64 s[0:1], s[0:1], 2
	s_delay_alu instid0(SALU_CYCLE_1) | instskip(SKIP_2) | instid1(SALU_CYCLE_1)
	v_add_co_u32 v0, vcc_lo, v41, s0
	v_add_co_ci_u32_e32 v1, vcc_lo, s1, v42, vcc_lo
	s_lshl_b64 s[0:1], s[18:19], 1
	v_add_co_u32 v2, vcc_lo, v39, s0
	v_add_co_ci_u32_e32 v3, vcc_lo, s1, v40, vcc_lo
	global_load_b32 v4, v[0:1], off
	global_load_b64 v[0:1], v[2:3], off
	s_waitcnt vmcnt(1)
	v_lshrrev_b32_e32 v2, v38, v4
	v_bfe_u32 v3, v4, v38, 4
	s_waitcnt vmcnt(0)
	v_lshlrev_b32_e32 v45, 16, v0
	v_and_b32_e32 v46, 0xffff0000, v0
	v_lshlrev_b32_e32 v47, 16, v1
	v_bfe_u32 v0, v2, 4, 4
	v_bfe_u32 v4, v2, 8, 4
	;; [unrolled: 1-line block ×3, first 2 shown]
	v_add_nc_u32_e32 v3, 0x81, v3
	v_and_b32_e32 v48, 0xffff0000, v1
	v_add_nc_u32_e32 v0, 0x81, v0
	v_add_nc_u32_e32 v4, 0x81, v4
	;; [unrolled: 1-line block ×3, first 2 shown]
	v_cvt_f32_ubyte0_e32 v1, v3
	s_delay_alu instid0(VALU_DEP_4) | instskip(NEXT) | instid1(VALU_DEP_4)
	v_cvt_f32_ubyte0_e32 v0, v0
	v_cvt_f32_ubyte0_e32 v3, v4
	s_delay_alu instid0(VALU_DEP_4) | instskip(NEXT) | instid1(VALU_DEP_4)
	v_cvt_f32_ubyte0_e32 v2, v2
	v_mul_f32_e64 v49, -v1, v45
	s_delay_alu instid0(VALU_DEP_4) | instskip(NEXT) | instid1(VALU_DEP_4)
	v_mul_f32_e64 v50, -v0, v46
	v_mul_f32_e64 v51, -v3, v47
	s_delay_alu instid0(VALU_DEP_4)
	v_mul_f32_e64 v52, -v2, v48
.LBB7_27:                               ;   in Loop: Header=BB7_25 Depth=1
	global_load_b128 v[59:62], v[34:35], off
	s_sub_i32 s0, s15, s34
	s_mov_b32 s19, 0
	s_lshl_b32 s18, s0, 1
	s_mov_b32 s20, 0
	v_mov_b32_e32 v28, s18
	ds_load_b128 v[0:3], v28
	ds_load_b128 v[4:7], v28 offset:528
	ds_load_b128 v[8:11], v28 offset:1056
	;; [unrolled: 1-line block ×7, first 2 shown]
	s_waitcnt lgkmcnt(7)
	v_dot2_f32_bf16 v36, v0, 0x3f803f80, 0
	s_waitcnt lgkmcnt(6)
	v_dot2_f32_bf16 v37, v4, 0x3f803f80, 0
	;; [unrolled: 2-line block ×8, first 2 shown]
	v_dot2_f32_bf16 v36, v1, 0x3f803f80, v36
	v_dot2_f32_bf16 v37, v5, 0x3f803f80, v37
	;; [unrolled: 1-line block ×24, first 2 shown]
	s_waitcnt vmcnt(0)
	ds_store_b128 v43, v[59:62]
.LBB7_28:                               ;   Parent Loop BB7_25 Depth=1
                                        ; =>  This Inner Loop Header: Depth=2
	s_cmp_eq_u32 s20, 1
	v_readfirstlane_b32 s21, v44
	s_cselect_b32 vcc_lo, -1, 0
	s_cmp_eq_u32 s20, 2
	v_dual_cndmask_b32 v59, v45, v46 :: v_dual_add_nc_u32 v68, s19, v43
	s_cselect_b32 s0, -1, 0
	s_cmp_eq_u32 s20, 3
	s_cselect_b32 s1, -1, 0
	s_add_i32 s21, s21, s19
	s_add_i32 s22, s19, 0
	;; [unrolled: 1-line block ×8, first 2 shown]
	s_addk_i32 s21, 0x70
	s_clause 0x7
	scratch_load_b32 v60, off, s22
	scratch_load_b32 v61, off, s23
	;; [unrolled: 1-line block ×8, first 2 shown]
	ds_load_b32 v68, v68
	v_cndmask_b32_e64 v59, v59, v47, s0
	s_add_i32 s19, s19, 4
	s_add_i32 s20, s20, 1
	s_cmp_eq_u32 s19, 16
	s_delay_alu instid0(VALU_DEP_1)
	v_cndmask_b32_e64 v59, v59, v48, s1
	s_waitcnt lgkmcnt(0)
	v_lshrrev_b32_e32 v70, 4, v68
	v_lshrrev_b32_e32 v71, 8, v68
	v_lshrrev_b32_e32 v72, 12, v68
	v_and_or_b32 v68, v68, s14, 0x43004300
	s_delay_alu instid0(VALU_DEP_4) | instskip(NEXT) | instid1(VALU_DEP_4)
	v_and_or_b32 v70, v70, s14, 0x43004300
	v_and_or_b32 v71, v71, s14, 0x43004300
	s_delay_alu instid0(VALU_DEP_4) | instskip(NEXT) | instid1(VALU_DEP_4)
	v_and_or_b32 v72, v72, s14, 0x43004300
	v_dot2_f32_bf16 v73, v0, v68, 0
	v_dot2_f32_bf16 v74, v4, v68, 0
	;; [unrolled: 1-line block ×26, first 2 shown]
	v_cndmask_b32_e32 v69, v49, v50, vcc_lo
	v_dot2_f32_bf16 v74, v15, v72, v75
	v_dot2_f32_bf16 v75, v19, v72, v76
	;; [unrolled: 1-line block ×4, first 2 shown]
	v_cndmask_b32_e64 v69, v69, v51, s0
	v_dot2_f32_bf16 v68, v31, v72, v68
	v_dot2_f32_bf16 v70, v3, v72, v70
	s_delay_alu instid0(VALU_DEP_3) | instskip(SKIP_1) | instid1(VALU_DEP_1)
	v_cndmask_b32_e64 v69, v69, v52, s1
	s_waitcnt vmcnt(6)
	v_fmac_f32_e32 v61, v69, v37
	s_delay_alu instid0(VALU_DEP_1) | instskip(SKIP_3) | instid1(VALU_DEP_3)
	v_dual_fmac_f32 v60, v69, v36 :: v_dual_fmac_f32 v61, v59, v71
	s_waitcnt vmcnt(0)
	v_fmac_f32_e32 v67, v69, v58
	v_fmac_f32_e32 v66, v69, v57
	;; [unrolled: 1-line block ×3, first 2 shown]
	s_delay_alu instid0(VALU_DEP_3) | instskip(NEXT) | instid1(VALU_DEP_3)
	v_fmac_f32_e32 v67, v59, v68
	v_dual_fmac_f32 v65, v69, v56 :: v_dual_fmac_f32 v66, v59, v77
	s_delay_alu instid0(VALU_DEP_1) | instskip(NEXT) | instid1(VALU_DEP_1)
	v_dual_fmac_f32 v64, v69, v55 :: v_dual_fmac_f32 v65, v59, v76
	v_dual_fmac_f32 v63, v69, v54 :: v_dual_fmac_f32 v64, v59, v75
	s_delay_alu instid0(VALU_DEP_1) | instskip(NEXT) | instid1(VALU_DEP_1)
	v_dual_fmac_f32 v62, v69, v53 :: v_dual_fmac_f32 v63, v59, v74
	v_fmac_f32_e32 v62, v59, v73
	s_clause 0x7
	scratch_store_b32 off, v60, s22
	scratch_store_b32 off, v61, s23
	;; [unrolled: 1-line block ×8, first 2 shown]
	s_cbranch_scc0 .LBB7_28
; %bb.29:                               ;   in Loop: Header=BB7_25 Depth=1
	v_add_co_u32 v36, vcc_lo, v34, s6
	v_add_co_ci_u32_e32 v37, vcc_lo, s7, v35, vcc_lo
	v_mov_b32_e32 v28, s18
	s_mov_b32 s19, 0
	s_mov_b32 s20, 0
	global_load_b128 v[61:64], v[36:37], off
	ds_load_b128 v[0:3], v28 offset:16
	ds_load_b128 v[4:7], v28 offset:544
	;; [unrolled: 1-line block ×8, first 2 shown]
	s_waitcnt lgkmcnt(7)
	v_dot2_f32_bf16 v53, v0, 0x3f803f80, 0
	s_waitcnt lgkmcnt(6)
	v_dot2_f32_bf16 v54, v4, 0x3f803f80, 0
	;; [unrolled: 2-line block ×8, first 2 shown]
	v_dot2_f32_bf16 v53, v1, 0x3f803f80, v53
	v_dot2_f32_bf16 v54, v5, 0x3f803f80, v54
	;; [unrolled: 1-line block ×24, first 2 shown]
	s_waitcnt vmcnt(0)
	ds_store_b128 v43, v[61:64]
.LBB7_30:                               ;   Parent Loop BB7_25 Depth=1
                                        ; =>  This Inner Loop Header: Depth=2
	s_cmp_eq_u32 s20, 1
	v_readfirstlane_b32 s21, v44
	s_cselect_b32 vcc_lo, -1, 0
	s_cmp_eq_u32 s20, 2
	v_dual_cndmask_b32 v61, v45, v46 :: v_dual_add_nc_u32 v70, s19, v43
	s_cselect_b32 s0, -1, 0
	s_cmp_eq_u32 s20, 3
	v_cndmask_b32_e32 v71, v49, v50, vcc_lo
	s_cselect_b32 s1, -1, 0
	s_add_i32 s21, s21, s19
	s_add_i32 s22, s19, 0
	;; [unrolled: 1-line block ×8, first 2 shown]
	s_addk_i32 s21, 0x70
	s_clause 0x7
	scratch_load_b32 v62, off, s22
	scratch_load_b32 v63, off, s23
	;; [unrolled: 1-line block ×8, first 2 shown]
	ds_load_b32 v70, v70
	v_cndmask_b32_e64 v71, v71, v51, s0
	v_cndmask_b32_e64 v61, v61, v47, s0
	s_add_i32 s19, s19, 4
	s_add_i32 s20, s20, 1
	s_cmp_lg_u32 s19, 16
	v_cndmask_b32_e64 v71, v71, v52, s1
	v_cndmask_b32_e64 v61, v61, v48, s1
	s_waitcnt lgkmcnt(0)
	v_lshrrev_b32_e32 v72, 4, v70
	v_lshrrev_b32_e32 v73, 8, v70
	;; [unrolled: 1-line block ×3, first 2 shown]
	v_and_or_b32 v70, v70, s14, 0x43004300
	s_delay_alu instid0(VALU_DEP_4) | instskip(NEXT) | instid1(VALU_DEP_4)
	v_and_or_b32 v72, v72, s14, 0x43004300
	v_and_or_b32 v73, v73, s14, 0x43004300
	s_delay_alu instid0(VALU_DEP_4) | instskip(NEXT) | instid1(VALU_DEP_4)
	v_and_or_b32 v74, v74, s14, 0x43004300
	v_dot2_f32_bf16 v75, v0, v70, 0
	v_dot2_f32_bf16 v76, v4, v70, 0
	;; [unrolled: 1-line block ×32, first 2 shown]
	s_waitcnt vmcnt(4)
	v_fmac_f32_e32 v65, v71, v56
	v_fmac_f32_e32 v62, v71, v53
	s_waitcnt vmcnt(2)
	v_fmac_f32_e32 v67, v71, v58
	v_fmac_f32_e32 v66, v71, v57
	;; [unrolled: 3-line block ×3, first 2 shown]
	v_dual_fmac_f32 v63, v71, v54 :: v_dual_fmac_f32 v62, v61, v72
	v_fmac_f32_e32 v64, v71, v55
	s_delay_alu instid0(VALU_DEP_4) | instskip(NEXT) | instid1(VALU_DEP_3)
	v_dual_fmac_f32 v68, v71, v59 :: v_dual_fmac_f32 v69, v61, v70
	v_fmac_f32_e32 v63, v61, v73
	v_fmac_f32_e32 v67, v61, v78
	s_delay_alu instid0(VALU_DEP_4)
	v_fmac_f32_e32 v64, v61, v75
	v_fmac_f32_e32 v66, v61, v77
	;; [unrolled: 1-line block ×3, first 2 shown]
	s_clause 0x7
	scratch_store_b32 off, v62, s22
	scratch_store_b32 off, v63, s23
	;; [unrolled: 1-line block ×8, first 2 shown]
	s_cbranch_scc1 .LBB7_30
; %bb.31:                               ;   in Loop: Header=BB7_25 Depth=1
	v_add_co_u32 v36, vcc_lo, v36, s6
	v_add_co_ci_u32_e32 v37, vcc_lo, s7, v37, vcc_lo
	v_mov_b32_e32 v28, s18
	s_mov_b32 s19, 0
	s_mov_b32 s20, 0
	global_load_b128 v[61:64], v[36:37], off
	ds_load_b128 v[0:3], v28 offset:32
	ds_load_b128 v[4:7], v28 offset:560
	;; [unrolled: 1-line block ×8, first 2 shown]
	s_waitcnt lgkmcnt(7)
	v_dot2_f32_bf16 v53, v0, 0x3f803f80, 0
	s_waitcnt lgkmcnt(6)
	v_dot2_f32_bf16 v54, v4, 0x3f803f80, 0
	;; [unrolled: 2-line block ×8, first 2 shown]
	v_dot2_f32_bf16 v53, v1, 0x3f803f80, v53
	v_dot2_f32_bf16 v54, v5, 0x3f803f80, v54
	v_dot2_f32_bf16 v55, v9, 0x3f803f80, v55
	v_dot2_f32_bf16 v56, v13, 0x3f803f80, v56
	v_dot2_f32_bf16 v57, v17, 0x3f803f80, v57
	v_dot2_f32_bf16 v58, v21, 0x3f803f80, v58
	v_dot2_f32_bf16 v59, v25, 0x3f803f80, v59
	v_dot2_f32_bf16 v60, v29, 0x3f803f80, v60
	v_dot2_f32_bf16 v53, v2, 0x3f803f80, v53
	v_dot2_f32_bf16 v54, v6, 0x3f803f80, v54
	v_dot2_f32_bf16 v55, v10, 0x3f803f80, v55
	v_dot2_f32_bf16 v56, v14, 0x3f803f80, v56
	v_dot2_f32_bf16 v57, v18, 0x3f803f80, v57
	v_dot2_f32_bf16 v58, v22, 0x3f803f80, v58
	v_dot2_f32_bf16 v59, v26, 0x3f803f80, v59
	v_dot2_f32_bf16 v60, v30, 0x3f803f80, v60
	v_dot2_f32_bf16 v53, v3, 0x3f803f80, v53
	v_dot2_f32_bf16 v54, v7, 0x3f803f80, v54
	v_dot2_f32_bf16 v55, v11, 0x3f803f80, v55
	v_dot2_f32_bf16 v56, v15, 0x3f803f80, v56
	v_dot2_f32_bf16 v57, v19, 0x3f803f80, v57
	v_dot2_f32_bf16 v58, v23, 0x3f803f80, v58
	v_dot2_f32_bf16 v59, v27, 0x3f803f80, v59
	v_dot2_f32_bf16 v60, v31, 0x3f803f80, v60
	s_waitcnt vmcnt(0)
	ds_store_b128 v43, v[61:64]
.LBB7_32:                               ;   Parent Loop BB7_25 Depth=1
                                        ; =>  This Inner Loop Header: Depth=2
	s_cmp_eq_u32 s20, 1
	v_readfirstlane_b32 s21, v44
	s_cselect_b32 vcc_lo, -1, 0
	s_cmp_eq_u32 s20, 2
	v_dual_cndmask_b32 v61, v45, v46 :: v_dual_add_nc_u32 v70, s19, v43
	s_cselect_b32 s0, -1, 0
	s_cmp_eq_u32 s20, 3
	v_cndmask_b32_e32 v71, v49, v50, vcc_lo
	s_cselect_b32 s1, -1, 0
	s_add_i32 s21, s21, s19
	s_add_i32 s22, s19, 0
	;; [unrolled: 1-line block ×8, first 2 shown]
	s_addk_i32 s21, 0x70
	s_clause 0x7
	scratch_load_b32 v62, off, s22
	scratch_load_b32 v63, off, s23
	scratch_load_b32 v64, off, s35
	scratch_load_b32 v65, off, s36
	scratch_load_b32 v66, off, s37
	scratch_load_b32 v67, off, s38
	scratch_load_b32 v68, off, s39
	scratch_load_b32 v69, off, s21
	ds_load_b32 v70, v70
	v_cndmask_b32_e64 v71, v71, v51, s0
	v_cndmask_b32_e64 v61, v61, v47, s0
	s_add_i32 s19, s19, 4
	s_add_i32 s20, s20, 1
	s_cmp_lg_u32 s19, 16
	v_cndmask_b32_e64 v71, v71, v52, s1
	v_cndmask_b32_e64 v61, v61, v48, s1
	s_waitcnt lgkmcnt(0)
	v_lshrrev_b32_e32 v72, 4, v70
	v_lshrrev_b32_e32 v73, 8, v70
	;; [unrolled: 1-line block ×3, first 2 shown]
	v_and_or_b32 v70, v70, s14, 0x43004300
	s_delay_alu instid0(VALU_DEP_4) | instskip(NEXT) | instid1(VALU_DEP_4)
	v_and_or_b32 v72, v72, s14, 0x43004300
	v_and_or_b32 v73, v73, s14, 0x43004300
	s_delay_alu instid0(VALU_DEP_4) | instskip(NEXT) | instid1(VALU_DEP_4)
	v_and_or_b32 v74, v74, s14, 0x43004300
	v_dot2_f32_bf16 v75, v0, v70, 0
	v_dot2_f32_bf16 v76, v4, v70, 0
	;; [unrolled: 1-line block ×32, first 2 shown]
	s_waitcnt vmcnt(4)
	v_fmac_f32_e32 v65, v71, v56
	v_fmac_f32_e32 v62, v71, v53
	s_waitcnt vmcnt(2)
	v_fmac_f32_e32 v67, v71, v58
	v_fmac_f32_e32 v66, v71, v57
	;; [unrolled: 3-line block ×3, first 2 shown]
	v_dual_fmac_f32 v63, v71, v54 :: v_dual_fmac_f32 v62, v61, v72
	v_fmac_f32_e32 v64, v71, v55
	s_delay_alu instid0(VALU_DEP_4) | instskip(NEXT) | instid1(VALU_DEP_3)
	v_dual_fmac_f32 v68, v71, v59 :: v_dual_fmac_f32 v69, v61, v70
	v_fmac_f32_e32 v63, v61, v73
	v_fmac_f32_e32 v67, v61, v78
	s_delay_alu instid0(VALU_DEP_4)
	v_fmac_f32_e32 v64, v61, v75
	v_fmac_f32_e32 v66, v61, v77
	;; [unrolled: 1-line block ×3, first 2 shown]
	s_clause 0x7
	scratch_store_b32 off, v62, s22
	scratch_store_b32 off, v63, s23
	;; [unrolled: 1-line block ×8, first 2 shown]
	s_cbranch_scc1 .LBB7_32
; %bb.33:                               ;   in Loop: Header=BB7_25 Depth=1
	v_add_co_u32 v0, vcc_lo, v36, s6
	v_add_co_ci_u32_e32 v1, vcc_lo, s7, v37, vcc_lo
	v_mov_b32_e32 v28, s18
	s_mov_b32 s18, 0
	s_mov_b32 s19, 0
	global_load_b128 v[59:62], v[0:1], off
	ds_load_b128 v[0:3], v28 offset:48
	ds_load_b128 v[4:7], v28 offset:576
	;; [unrolled: 1-line block ×8, first 2 shown]
	s_waitcnt lgkmcnt(7)
	v_dot2_f32_bf16 v36, v0, 0x3f803f80, 0
	s_waitcnt lgkmcnt(6)
	v_dot2_f32_bf16 v37, v4, 0x3f803f80, 0
	;; [unrolled: 2-line block ×8, first 2 shown]
	v_dot2_f32_bf16 v36, v1, 0x3f803f80, v36
	v_dot2_f32_bf16 v37, v5, 0x3f803f80, v37
	;; [unrolled: 1-line block ×24, first 2 shown]
	s_waitcnt vmcnt(0)
	ds_store_b128 v43, v[59:62]
.LBB7_34:                               ;   Parent Loop BB7_25 Depth=1
                                        ; =>  This Inner Loop Header: Depth=2
	s_cmp_eq_u32 s19, 1
	v_readfirstlane_b32 s20, v44
	s_cselect_b32 vcc_lo, -1, 0
	s_cmp_eq_u32 s19, 2
	v_dual_cndmask_b32 v59, v45, v46 :: v_dual_add_nc_u32 v68, s18, v43
	s_cselect_b32 s0, -1, 0
	s_cmp_eq_u32 s19, 3
	s_cselect_b32 s1, -1, 0
	s_add_i32 s20, s20, s18
	s_add_i32 s21, s18, 0
	;; [unrolled: 1-line block ×8, first 2 shown]
	s_addk_i32 s20, 0x70
	s_clause 0x7
	scratch_load_b32 v60, off, s21
	scratch_load_b32 v61, off, s22
	;; [unrolled: 1-line block ×8, first 2 shown]
	ds_load_b32 v68, v68
	v_cndmask_b32_e64 v59, v59, v47, s0
	s_add_i32 s18, s18, 4
	s_add_i32 s19, s19, 1
	s_cmp_lg_u32 s18, 16
	s_delay_alu instid0(VALU_DEP_1)
	v_cndmask_b32_e64 v59, v59, v48, s1
	s_waitcnt lgkmcnt(0)
	v_lshrrev_b32_e32 v70, 4, v68
	v_lshrrev_b32_e32 v71, 8, v68
	;; [unrolled: 1-line block ×3, first 2 shown]
	v_and_or_b32 v68, v68, s14, 0x43004300
	s_delay_alu instid0(VALU_DEP_4) | instskip(NEXT) | instid1(VALU_DEP_4)
	v_and_or_b32 v70, v70, s14, 0x43004300
	v_and_or_b32 v71, v71, s14, 0x43004300
	s_delay_alu instid0(VALU_DEP_4) | instskip(NEXT) | instid1(VALU_DEP_4)
	v_and_or_b32 v72, v72, s14, 0x43004300
	v_dot2_f32_bf16 v73, v0, v68, 0
	v_dot2_f32_bf16 v74, v4, v68, 0
	;; [unrolled: 1-line block ×26, first 2 shown]
	v_cndmask_b32_e32 v69, v49, v50, vcc_lo
	v_dot2_f32_bf16 v74, v15, v72, v75
	v_dot2_f32_bf16 v75, v19, v72, v76
	;; [unrolled: 1-line block ×4, first 2 shown]
	v_cndmask_b32_e64 v69, v69, v51, s0
	v_dot2_f32_bf16 v68, v31, v72, v68
	v_dot2_f32_bf16 v70, v3, v72, v70
	s_delay_alu instid0(VALU_DEP_3) | instskip(SKIP_1) | instid1(VALU_DEP_1)
	v_cndmask_b32_e64 v69, v69, v52, s1
	s_waitcnt vmcnt(6)
	v_fmac_f32_e32 v61, v69, v37
	s_delay_alu instid0(VALU_DEP_1) | instskip(SKIP_3) | instid1(VALU_DEP_3)
	v_dual_fmac_f32 v60, v69, v36 :: v_dual_fmac_f32 v61, v59, v71
	s_waitcnt vmcnt(0)
	v_fmac_f32_e32 v67, v69, v58
	v_fmac_f32_e32 v66, v69, v57
	;; [unrolled: 1-line block ×3, first 2 shown]
	s_delay_alu instid0(VALU_DEP_3) | instskip(NEXT) | instid1(VALU_DEP_3)
	v_fmac_f32_e32 v67, v59, v68
	v_dual_fmac_f32 v65, v69, v56 :: v_dual_fmac_f32 v66, v59, v77
	s_delay_alu instid0(VALU_DEP_1) | instskip(NEXT) | instid1(VALU_DEP_1)
	v_dual_fmac_f32 v64, v69, v55 :: v_dual_fmac_f32 v65, v59, v76
	v_dual_fmac_f32 v63, v69, v54 :: v_dual_fmac_f32 v64, v59, v75
	s_delay_alu instid0(VALU_DEP_1) | instskip(NEXT) | instid1(VALU_DEP_1)
	v_dual_fmac_f32 v62, v69, v53 :: v_dual_fmac_f32 v63, v59, v74
	v_fmac_f32_e32 v62, v59, v73
	s_clause 0x7
	scratch_store_b32 off, v60, s21
	scratch_store_b32 off, v61, s22
	;; [unrolled: 1-line block ×8, first 2 shown]
	s_cbranch_scc1 .LBB7_34
; %bb.35:                               ;   in Loop: Header=BB7_25 Depth=1
	v_add_co_u32 v34, vcc_lo, v34, s10
	v_add_co_ci_u32_e32 v35, vcc_lo, s11, v35, vcc_lo
	s_add_i32 s15, s15, 32
	s_delay_alu instid0(SALU_CYCLE_1)
	s_cmp_ge_i32 s15, s33
	s_cbranch_scc0 .LBB7_25
.LBB7_36:
	s_bitcmp1_b32 s28, 0
	s_delay_alu instid0(VALU_DEP_1) | instskip(SKIP_4) | instid1(SALU_CYCLE_1)
	v_add_co_u32 v6, vcc_lo, s16, v32
	s_cselect_b32 s0, -1, 0
	s_cmp_lg_u64 s[24:25], 0
	v_add_co_ci_u32_e32 v7, vcc_lo, s17, v33, vcc_lo
	s_cselect_b32 s1, -1, 0
	s_and_b32 s11, s1, s0
	s_cmp_gt_i32 s29, 0
	v_cndmask_b32_e64 v8, 0, 1, s11
	s_cselect_b32 s5, -1, 0
	s_ashr_i32 s31, s30, 31
	s_delay_alu instid0(SALU_CYCLE_1) | instskip(NEXT) | instid1(VALU_DEP_1)
	s_lshl_b64 s[0:1], s[30:31], 2
	v_cmp_ne_u32_e32 vcc_lo, 1, v8
	s_add_u32 s0, s26, s0
	s_addc_u32 s1, s27, s1
	s_abs_i32 s9, s8
	s_load_b32 s6, s[0:1], 0x0
	v_cvt_f32_u32_e32 v0, s9
	s_sub_i32 s7, 0, s9
	s_ashr_i32 s8, s8, 31
	s_delay_alu instid0(VALU_DEP_1) | instskip(SKIP_4) | instid1(VALU_DEP_1)
	v_rcp_iflag_f32_e32 v0, v0
	s_waitcnt_depctr 0xfff
	v_mul_f32_e32 v0, 0x4f7ffffe, v0
	s_waitcnt lgkmcnt(0)
	s_abs_i32 s12, s6
	v_cvt_u32_f32_e32 v0, v0
	s_delay_alu instid0(VALU_DEP_1) | instskip(NEXT) | instid1(VALU_DEP_1)
	v_readfirstlane_b32 s10, v0
	s_mul_i32 s7, s7, s10
	s_delay_alu instid0(SALU_CYCLE_1) | instskip(NEXT) | instid1(SALU_CYCLE_1)
	s_mul_hi_u32 s7, s10, s7
	s_add_i32 s10, s10, s7
	s_ashr_i32 s7, s6, 31
	s_mul_hi_u32 s13, s12, s10
	s_xor_b32 s15, s7, s8
	s_mul_i32 s14, s13, s9
	s_add_i32 s18, s13, 1
	s_sub_i32 s14, s12, s14
	s_delay_alu instid0(SALU_CYCLE_1)
	s_sub_i32 s19, s14, s9
	s_cmp_ge_u32 s14, s9
	s_cselect_b32 s13, s18, s13
	s_cselect_b32 s14, s19, s14
	s_add_i32 s18, s13, 1
	s_cmp_ge_u32 s14, s9
	s_cselect_b32 s13, s18, s13
	s_delay_alu instid0(SALU_CYCLE_1) | instskip(NEXT) | instid1(SALU_CYCLE_1)
	s_xor_b32 s13, s13, s15
	s_sub_i32 s13, s13, s15
	s_delay_alu instid0(SALU_CYCLE_1)
	s_cmp_lt_i32 s13, s4
	s_cbranch_scc0 .LBB7_76
; %bb.37:
	s_and_b32 vcc_lo, exec_lo, vcc_lo
	s_cbranch_vccnz .LBB7_39
; %bb.38:
	scratch_load_b128 v[0:3], off, off
	s_lshl_b64 s[14:15], s[6:7], 2
	s_delay_alu instid0(SALU_CYCLE_1)
	s_add_u32 s14, s24, s14
	s_addc_u32 s15, s25, s15
	s_load_b32 s13, s[14:15], 0x0
	s_waitcnt vmcnt(0) lgkmcnt(0)
	v_dual_mul_f32 v0, s13, v0 :: v_dual_mul_f32 v1, s13, v1
	v_dual_mul_f32 v2, s13, v2 :: v_dual_mul_f32 v3, s13, v3
	scratch_store_b128 off, v[0:3], off
.LBB7_39:
	s_and_not1_b32 vcc_lo, exec_lo, s5
	s_cbranch_vccnz .LBB7_41
; %bb.40:
	s_abs_i32 s6, s29
	s_delay_alu instid0(SALU_CYCLE_1) | instskip(SKIP_1) | instid1(VALU_DEP_1)
	v_cvt_f32_u32_e32 v0, s6
	s_sub_i32 s14, 0, s6
	v_rcp_iflag_f32_e32 v0, v0
	s_waitcnt_depctr 0xfff
	v_mul_f32_e32 v0, 0x4f7ffffe, v0
	s_delay_alu instid0(VALU_DEP_1) | instskip(NEXT) | instid1(VALU_DEP_1)
	v_cvt_u32_f32_e32 v0, v0
	v_readfirstlane_b32 s13, v0
	s_delay_alu instid0(VALU_DEP_1) | instskip(NEXT) | instid1(SALU_CYCLE_1)
	s_mul_i32 s14, s14, s13
	s_mul_hi_u32 s14, s13, s14
	s_delay_alu instid0(SALU_CYCLE_1)
	s_add_i32 s13, s13, s14
	s_ashr_i32 s14, s29, 31
	s_mul_hi_u32 s13, s12, s13
	s_xor_b32 s7, s7, s14
	s_mul_i32 s15, s13, s6
	s_add_i32 s14, s13, 1
	s_sub_i32 s12, s12, s15
	s_delay_alu instid0(SALU_CYCLE_1)
	s_sub_i32 s15, s12, s6
	s_cmp_ge_u32 s12, s6
	s_cselect_b32 s13, s14, s13
	s_cselect_b32 s12, s15, s12
	s_add_i32 s14, s13, 1
	s_cmp_ge_u32 s12, s6
	s_cselect_b32 s6, s14, s13
	s_delay_alu instid0(SALU_CYCLE_1) | instskip(NEXT) | instid1(SALU_CYCLE_1)
	s_xor_b32 s6, s6, s7
	s_sub_i32 s6, s6, s7
.LBB7_41:
	scratch_load_b32 v1, off, off
	s_waitcnt vmcnt(0)
	v_and_b32_e32 v0, 0x7f800000, v1
	s_delay_alu instid0(VALU_DEP_1) | instskip(SKIP_1) | instid1(SALU_CYCLE_1)
	v_cmp_ne_u32_e32 vcc_lo, 0x7f800000, v0
                                        ; implicit-def: $vgpr0
	s_and_saveexec_b32 s7, vcc_lo
	s_xor_b32 s7, exec_lo, s7
; %bb.42:
	v_bfe_u32 v0, v1, 16, 1
	s_delay_alu instid0(VALU_DEP_1)
	v_add3_u32 v0, v1, v0, 0x7fff
                                        ; implicit-def: $vgpr1
; %bb.43:
	s_and_not1_saveexec_b32 s7, s7
; %bb.44:
	v_and_b32_e32 v0, 0xffff, v1
	v_or_b32_e32 v2, 0x10000, v1
	s_delay_alu instid0(VALU_DEP_2) | instskip(NEXT) | instid1(VALU_DEP_2)
	v_cmp_eq_u32_e32 vcc_lo, 0, v0
	v_cndmask_b32_e32 v0, v2, v1, vcc_lo
; %bb.45:
	s_or_b32 exec_lo, exec_lo, s7
	scratch_load_b32 v2, off, off offset:4
	s_waitcnt vmcnt(0)
	v_and_b32_e32 v1, 0x7f800000, v2
	s_delay_alu instid0(VALU_DEP_1) | instskip(SKIP_1) | instid1(SALU_CYCLE_1)
	v_cmp_ne_u32_e32 vcc_lo, 0x7f800000, v1
                                        ; implicit-def: $vgpr1
	s_and_saveexec_b32 s7, vcc_lo
	s_xor_b32 s7, exec_lo, s7
; %bb.46:
	v_bfe_u32 v1, v2, 16, 1
	s_delay_alu instid0(VALU_DEP_1)
	v_add3_u32 v1, v2, v1, 0x7fff
                                        ; implicit-def: $vgpr2
; %bb.47:
	s_and_not1_saveexec_b32 s7, s7
; %bb.48:
	v_and_b32_e32 v1, 0xffff, v2
	v_or_b32_e32 v3, 0x10000, v2
	s_delay_alu instid0(VALU_DEP_2) | instskip(NEXT) | instid1(VALU_DEP_2)
	v_cmp_eq_u32_e32 vcc_lo, 0, v1
	v_cndmask_b32_e32 v1, v3, v2, vcc_lo
; %bb.49:
	s_or_b32 exec_lo, exec_lo, s7
	scratch_load_b32 v2, off, off offset:8
	s_mov_b32 s7, exec_lo
                                        ; implicit-def: $vgpr9
	s_waitcnt vmcnt(0)
	v_and_b32_e32 v3, 0x7f800000, v2
	s_delay_alu instid0(VALU_DEP_1)
	v_cmpx_ne_u32_e32 0x7f800000, v3
	s_xor_b32 s7, exec_lo, s7
; %bb.50:
	v_bfe_u32 v3, v2, 16, 1
	s_delay_alu instid0(VALU_DEP_1)
	v_add3_u32 v9, v2, v3, 0x7fff
                                        ; implicit-def: $vgpr2
; %bb.51:
	s_and_not1_saveexec_b32 s7, s7
; %bb.52:
	v_and_b32_e32 v3, 0xffff, v2
	v_or_b32_e32 v4, 0x10000, v2
	s_delay_alu instid0(VALU_DEP_2) | instskip(NEXT) | instid1(VALU_DEP_2)
	v_cmp_eq_u32_e32 vcc_lo, 0, v3
	v_cndmask_b32_e32 v9, v4, v2, vcc_lo
; %bb.53:
	s_or_b32 exec_lo, exec_lo, s7
	scratch_load_b32 v2, off, off offset:12
	s_mov_b32 s7, exec_lo
                                        ; implicit-def: $vgpr12
	s_waitcnt vmcnt(0)
	v_and_b32_e32 v3, 0x7f800000, v2
	s_delay_alu instid0(VALU_DEP_1)
	v_cmpx_ne_u32_e32 0x7f800000, v3
	s_xor_b32 s7, exec_lo, s7
; %bb.54:
	v_bfe_u32 v3, v2, 16, 1
	s_delay_alu instid0(VALU_DEP_1)
	v_add3_u32 v12, v2, v3, 0x7fff
                                        ; implicit-def: $vgpr2
; %bb.55:
	s_and_not1_saveexec_b32 s7, s7
; %bb.56:
	v_and_b32_e32 v3, 0xffff, v2
	v_or_b32_e32 v4, 0x10000, v2
	s_delay_alu instid0(VALU_DEP_2) | instskip(NEXT) | instid1(VALU_DEP_2)
	v_cmp_eq_u32_e32 vcc_lo, 0, v3
	v_cndmask_b32_e32 v12, v4, v2, vcc_lo
; %bb.57:
	s_or_b32 exec_lo, exec_lo, s7
	s_ashr_i32 s7, s6, 31
	s_mul_hi_u32 s12, s2, s6
	s_mul_i32 s7, s2, s7
	s_mul_i32 s13, s3, s6
	s_add_i32 s7, s12, s7
	s_mul_i32 s6, s2, s6
	s_add_i32 s7, s7, s13
	v_and_b32_e32 v9, 0xffff0000, v9
	s_lshl_b64 s[6:7], s[6:7], 1
	v_and_b32_e32 v10, 0xffff0000, v1
	v_add_co_u32 v4, vcc_lo, v6, s6
	v_add_co_ci_u32_e32 v5, vcc_lo, s7, v7, vcc_lo
	v_and_b32_e32 v11, 0xffff0000, v0
	v_and_b32_e32 v12, 0xffff0000, v12
	s_mov_b32 s6, 0
	global_load_b64 v[2:3], v[4:5], off
	s_branch .LBB7_59
.LBB7_58:                               ;   in Loop: Header=BB7_59 Depth=1
	s_or_b32 exec_lo, exec_lo, s7
	v_lshrrev_b32_e32 v1, 16, v1
	s_delay_alu instid0(VALU_DEP_2) | instskip(SKIP_1) | instid1(VALU_DEP_2)
	v_and_b32_e32 v14, 0xffff0000, v15
	v_lshrrev_b32_e32 v0, 16, v0
	v_or_b32_e32 v1, v14, v1
	s_delay_alu instid0(VALU_DEP_2)
	v_and_or_b32 v0, 0xffff0000, v13, v0
	global_atomic_cmpswap_b64 v[0:1], v[4:5], v[0:3], off glc
	s_waitcnt vmcnt(0)
	v_cmp_eq_u64_e32 vcc_lo, v[0:1], v[2:3]
	v_dual_mov_b32 v3, v1 :: v_dual_mov_b32 v2, v0
	s_or_b32 s6, vcc_lo, s6
	s_delay_alu instid0(SALU_CYCLE_1)
	s_and_not1_b32 exec_lo, exec_lo, s6
	s_cbranch_execz .LBB7_75
.LBB7_59:                               ; =>This Inner Loop Header: Depth=1
	s_waitcnt vmcnt(0)
	v_lshlrev_b32_e32 v0, 16, v2
	s_delay_alu instid0(VALU_DEP_1) | instskip(NEXT) | instid1(VALU_DEP_1)
	v_add_f32_e32 v1, v11, v0
	v_and_b32_e32 v0, 0x7f800000, v1
	s_delay_alu instid0(VALU_DEP_1) | instskip(SKIP_1) | instid1(SALU_CYCLE_1)
	v_cmp_ne_u32_e32 vcc_lo, 0x7f800000, v0
                                        ; implicit-def: $vgpr0
	s_and_saveexec_b32 s7, vcc_lo
	s_xor_b32 s7, exec_lo, s7
; %bb.60:                               ;   in Loop: Header=BB7_59 Depth=1
	v_bfe_u32 v0, v1, 16, 1
	s_delay_alu instid0(VALU_DEP_1)
	v_add3_u32 v0, v1, v0, 0x7fff
                                        ; implicit-def: $vgpr1
; %bb.61:                               ;   in Loop: Header=BB7_59 Depth=1
	s_and_not1_saveexec_b32 s7, s7
; %bb.62:                               ;   in Loop: Header=BB7_59 Depth=1
	v_and_b32_e32 v0, 0xffff, v1
	v_or_b32_e32 v13, 0x10000, v1
	s_delay_alu instid0(VALU_DEP_2) | instskip(NEXT) | instid1(VALU_DEP_2)
	v_cmp_eq_u32_e32 vcc_lo, 0, v0
	v_cndmask_b32_e32 v0, v13, v1, vcc_lo
; %bb.63:                               ;   in Loop: Header=BB7_59 Depth=1
	s_or_b32 exec_lo, exec_lo, s7
	v_and_b32_e32 v1, 0xffff0000, v2
	s_delay_alu instid0(VALU_DEP_1) | instskip(NEXT) | instid1(VALU_DEP_1)
	v_add_f32_e32 v1, v10, v1
	v_and_b32_e32 v13, 0x7f800000, v1
	s_delay_alu instid0(VALU_DEP_1) | instskip(SKIP_1) | instid1(SALU_CYCLE_1)
	v_cmp_ne_u32_e32 vcc_lo, 0x7f800000, v13
                                        ; implicit-def: $vgpr13
	s_and_saveexec_b32 s7, vcc_lo
	s_xor_b32 s7, exec_lo, s7
; %bb.64:                               ;   in Loop: Header=BB7_59 Depth=1
	v_bfe_u32 v13, v1, 16, 1
	s_delay_alu instid0(VALU_DEP_1)
	v_add3_u32 v13, v1, v13, 0x7fff
                                        ; implicit-def: $vgpr1
; %bb.65:                               ;   in Loop: Header=BB7_59 Depth=1
	s_and_not1_saveexec_b32 s7, s7
; %bb.66:                               ;   in Loop: Header=BB7_59 Depth=1
	v_and_b32_e32 v13, 0xffff, v1
	v_or_b32_e32 v14, 0x10000, v1
	s_delay_alu instid0(VALU_DEP_2) | instskip(NEXT) | instid1(VALU_DEP_2)
	v_cmp_eq_u32_e32 vcc_lo, 0, v13
	v_cndmask_b32_e32 v13, v14, v1, vcc_lo
; %bb.67:                               ;   in Loop: Header=BB7_59 Depth=1
	s_or_b32 exec_lo, exec_lo, s7
	v_alignbit_b32 v1, v3, v2, 16
	s_delay_alu instid0(VALU_DEP_1) | instskip(NEXT) | instid1(VALU_DEP_1)
	v_and_b32_e32 v1, 0xffff0000, v1
	v_add_f32_e32 v14, v9, v1
	s_delay_alu instid0(VALU_DEP_1) | instskip(NEXT) | instid1(VALU_DEP_1)
	v_and_b32_e32 v1, 0x7f800000, v14
	v_cmp_ne_u32_e32 vcc_lo, 0x7f800000, v1
                                        ; implicit-def: $vgpr1
	s_and_saveexec_b32 s7, vcc_lo
	s_delay_alu instid0(SALU_CYCLE_1)
	s_xor_b32 s7, exec_lo, s7
; %bb.68:                               ;   in Loop: Header=BB7_59 Depth=1
	v_bfe_u32 v1, v14, 16, 1
	s_delay_alu instid0(VALU_DEP_1)
	v_add3_u32 v1, v14, v1, 0x7fff
                                        ; implicit-def: $vgpr14
; %bb.69:                               ;   in Loop: Header=BB7_59 Depth=1
	s_and_not1_saveexec_b32 s7, s7
; %bb.70:                               ;   in Loop: Header=BB7_59 Depth=1
	v_and_b32_e32 v1, 0xffff, v14
	v_or_b32_e32 v15, 0x10000, v14
	s_delay_alu instid0(VALU_DEP_2) | instskip(NEXT) | instid1(VALU_DEP_2)
	v_cmp_eq_u32_e32 vcc_lo, 0, v1
	v_cndmask_b32_e32 v1, v15, v14, vcc_lo
; %bb.71:                               ;   in Loop: Header=BB7_59 Depth=1
	s_or_b32 exec_lo, exec_lo, s7
	v_and_b32_e32 v14, 0xffff0000, v3
	s_delay_alu instid0(VALU_DEP_1) | instskip(NEXT) | instid1(VALU_DEP_1)
	v_add_f32_e32 v14, v12, v14
	v_and_b32_e32 v15, 0x7f800000, v14
	s_delay_alu instid0(VALU_DEP_1) | instskip(SKIP_1) | instid1(SALU_CYCLE_1)
	v_cmp_ne_u32_e32 vcc_lo, 0x7f800000, v15
                                        ; implicit-def: $vgpr15
	s_and_saveexec_b32 s7, vcc_lo
	s_xor_b32 s7, exec_lo, s7
; %bb.72:                               ;   in Loop: Header=BB7_59 Depth=1
	v_bfe_u32 v15, v14, 16, 1
	s_delay_alu instid0(VALU_DEP_1)
	v_add3_u32 v15, v14, v15, 0x7fff
                                        ; implicit-def: $vgpr14
; %bb.73:                               ;   in Loop: Header=BB7_59 Depth=1
	s_and_not1_saveexec_b32 s7, s7
	s_cbranch_execz .LBB7_58
; %bb.74:                               ;   in Loop: Header=BB7_59 Depth=1
	v_and_b32_e32 v15, 0xffff, v14
	v_or_b32_e32 v16, 0x10000, v14
	s_delay_alu instid0(VALU_DEP_2) | instskip(NEXT) | instid1(VALU_DEP_2)
	v_cmp_eq_u32_e32 vcc_lo, 0, v15
	v_cndmask_b32_e32 v15, v16, v14, vcc_lo
	s_branch .LBB7_58
.LBB7_75:
	s_or_b32 exec_lo, exec_lo, s6
.LBB7_76:
	s_load_b32 s6, s[0:1], 0x4
	s_waitcnt lgkmcnt(0)
	s_abs_i32 s12, s6
	s_ashr_i32 s7, s6, 31
	s_mul_hi_u32 s13, s12, s10
	s_xor_b32 s15, s7, s8
	s_mul_i32 s14, s13, s9
	s_add_i32 s16, s13, 1
	s_sub_i32 s14, s12, s14
	s_delay_alu instid0(SALU_CYCLE_1)
	s_sub_i32 s17, s14, s9
	s_cmp_ge_u32 s14, s9
	s_cselect_b32 s13, s16, s13
	s_cselect_b32 s14, s17, s14
	s_add_i32 s16, s13, 1
	s_cmp_ge_u32 s14, s9
	s_cselect_b32 s13, s16, s13
	s_delay_alu instid0(SALU_CYCLE_1) | instskip(NEXT) | instid1(SALU_CYCLE_1)
	s_xor_b32 s13, s13, s15
	s_sub_i32 s13, s13, s15
	s_delay_alu instid0(SALU_CYCLE_1)
	s_cmp_ge_i32 s13, s4
	s_cbranch_scc1 .LBB7_116
; %bb.77:
	s_and_not1_b32 vcc_lo, exec_lo, s11
	s_cbranch_vccnz .LBB7_79
; %bb.78:
	scratch_load_b128 v[0:3], off, off offset:16
	s_lshl_b64 s[14:15], s[6:7], 2
	s_delay_alu instid0(SALU_CYCLE_1)
	s_add_u32 s14, s24, s14
	s_addc_u32 s15, s25, s15
	s_load_b32 s11, s[14:15], 0x0
	s_waitcnt vmcnt(0) lgkmcnt(0)
	v_dual_mul_f32 v0, s11, v0 :: v_dual_mul_f32 v1, s11, v1
	v_dual_mul_f32 v2, s11, v2 :: v_dual_mul_f32 v3, s11, v3
	scratch_store_b128 off, v[0:3], off offset:16
.LBB7_79:
	s_and_not1_b32 vcc_lo, exec_lo, s5
	s_cbranch_vccnz .LBB7_81
; %bb.80:
	s_abs_i32 s6, s29
	s_delay_alu instid0(SALU_CYCLE_1) | instskip(SKIP_1) | instid1(VALU_DEP_1)
	v_cvt_f32_u32_e32 v0, s6
	s_sub_i32 s13, 0, s6
	v_rcp_iflag_f32_e32 v0, v0
	s_waitcnt_depctr 0xfff
	v_mul_f32_e32 v0, 0x4f7ffffe, v0
	s_delay_alu instid0(VALU_DEP_1) | instskip(NEXT) | instid1(VALU_DEP_1)
	v_cvt_u32_f32_e32 v0, v0
	v_readfirstlane_b32 s11, v0
	s_delay_alu instid0(VALU_DEP_1) | instskip(NEXT) | instid1(SALU_CYCLE_1)
	s_mul_i32 s13, s13, s11
	s_mul_hi_u32 s13, s11, s13
	s_delay_alu instid0(SALU_CYCLE_1)
	s_add_i32 s11, s11, s13
	s_ashr_i32 s13, s29, 31
	s_mul_hi_u32 s11, s12, s11
	s_xor_b32 s7, s7, s13
	s_mul_i32 s14, s11, s6
	s_add_i32 s13, s11, 1
	s_sub_i32 s12, s12, s14
	s_delay_alu instid0(SALU_CYCLE_1)
	s_sub_i32 s14, s12, s6
	s_cmp_ge_u32 s12, s6
	s_cselect_b32 s11, s13, s11
	s_cselect_b32 s12, s14, s12
	s_add_i32 s13, s11, 1
	s_cmp_ge_u32 s12, s6
	s_cselect_b32 s6, s13, s11
	s_delay_alu instid0(SALU_CYCLE_1) | instskip(NEXT) | instid1(SALU_CYCLE_1)
	s_xor_b32 s6, s6, s7
	s_sub_i32 s6, s6, s7
.LBB7_81:
	scratch_load_b32 v1, off, off offset:16
	s_waitcnt vmcnt(0)
	v_and_b32_e32 v0, 0x7f800000, v1
	s_delay_alu instid0(VALU_DEP_1) | instskip(SKIP_1) | instid1(SALU_CYCLE_1)
	v_cmp_ne_u32_e32 vcc_lo, 0x7f800000, v0
                                        ; implicit-def: $vgpr0
	s_and_saveexec_b32 s7, vcc_lo
	s_xor_b32 s7, exec_lo, s7
; %bb.82:
	v_bfe_u32 v0, v1, 16, 1
	s_delay_alu instid0(VALU_DEP_1)
	v_add3_u32 v0, v1, v0, 0x7fff
                                        ; implicit-def: $vgpr1
; %bb.83:
	s_and_not1_saveexec_b32 s7, s7
; %bb.84:
	v_and_b32_e32 v0, 0xffff, v1
	v_or_b32_e32 v2, 0x10000, v1
	s_delay_alu instid0(VALU_DEP_2) | instskip(NEXT) | instid1(VALU_DEP_2)
	v_cmp_eq_u32_e32 vcc_lo, 0, v0
	v_cndmask_b32_e32 v0, v2, v1, vcc_lo
; %bb.85:
	s_or_b32 exec_lo, exec_lo, s7
	scratch_load_b32 v2, off, off offset:20
	s_waitcnt vmcnt(0)
	v_and_b32_e32 v1, 0x7f800000, v2
	s_delay_alu instid0(VALU_DEP_1) | instskip(SKIP_1) | instid1(SALU_CYCLE_1)
	v_cmp_ne_u32_e32 vcc_lo, 0x7f800000, v1
                                        ; implicit-def: $vgpr1
	s_and_saveexec_b32 s7, vcc_lo
	s_xor_b32 s7, exec_lo, s7
; %bb.86:
	v_bfe_u32 v1, v2, 16, 1
	s_delay_alu instid0(VALU_DEP_1)
	v_add3_u32 v1, v2, v1, 0x7fff
                                        ; implicit-def: $vgpr2
; %bb.87:
	s_and_not1_saveexec_b32 s7, s7
; %bb.88:
	v_and_b32_e32 v1, 0xffff, v2
	v_or_b32_e32 v3, 0x10000, v2
	s_delay_alu instid0(VALU_DEP_2) | instskip(NEXT) | instid1(VALU_DEP_2)
	v_cmp_eq_u32_e32 vcc_lo, 0, v1
	v_cndmask_b32_e32 v1, v3, v2, vcc_lo
; %bb.89:
	s_or_b32 exec_lo, exec_lo, s7
	scratch_load_b32 v2, off, off offset:24
	s_mov_b32 s7, exec_lo
                                        ; implicit-def: $vgpr9
	s_waitcnt vmcnt(0)
	v_and_b32_e32 v3, 0x7f800000, v2
	s_delay_alu instid0(VALU_DEP_1)
	v_cmpx_ne_u32_e32 0x7f800000, v3
	s_xor_b32 s7, exec_lo, s7
; %bb.90:
	v_bfe_u32 v3, v2, 16, 1
	s_delay_alu instid0(VALU_DEP_1)
	v_add3_u32 v9, v2, v3, 0x7fff
                                        ; implicit-def: $vgpr2
; %bb.91:
	s_and_not1_saveexec_b32 s7, s7
; %bb.92:
	v_and_b32_e32 v3, 0xffff, v2
	v_or_b32_e32 v4, 0x10000, v2
	s_delay_alu instid0(VALU_DEP_2) | instskip(NEXT) | instid1(VALU_DEP_2)
	v_cmp_eq_u32_e32 vcc_lo, 0, v3
	v_cndmask_b32_e32 v9, v4, v2, vcc_lo
; %bb.93:
	s_or_b32 exec_lo, exec_lo, s7
	scratch_load_b32 v2, off, off offset:28
	s_mov_b32 s7, exec_lo
                                        ; implicit-def: $vgpr12
	s_waitcnt vmcnt(0)
	v_and_b32_e32 v3, 0x7f800000, v2
	s_delay_alu instid0(VALU_DEP_1)
	v_cmpx_ne_u32_e32 0x7f800000, v3
	s_xor_b32 s7, exec_lo, s7
; %bb.94:
	v_bfe_u32 v3, v2, 16, 1
	s_delay_alu instid0(VALU_DEP_1)
	v_add3_u32 v12, v2, v3, 0x7fff
                                        ; implicit-def: $vgpr2
; %bb.95:
	s_and_not1_saveexec_b32 s7, s7
; %bb.96:
	v_and_b32_e32 v3, 0xffff, v2
	v_or_b32_e32 v4, 0x10000, v2
	s_delay_alu instid0(VALU_DEP_2) | instskip(NEXT) | instid1(VALU_DEP_2)
	v_cmp_eq_u32_e32 vcc_lo, 0, v3
	v_cndmask_b32_e32 v12, v4, v2, vcc_lo
; %bb.97:
	s_or_b32 exec_lo, exec_lo, s7
	s_ashr_i32 s7, s6, 31
	s_mul_hi_u32 s11, s2, s6
	s_mul_i32 s7, s2, s7
	s_mul_i32 s12, s3, s6
	s_add_i32 s7, s11, s7
	s_mul_i32 s6, s2, s6
	s_add_i32 s7, s7, s12
	v_and_b32_e32 v9, 0xffff0000, v9
	s_lshl_b64 s[6:7], s[6:7], 1
	v_and_b32_e32 v10, 0xffff0000, v1
	v_add_co_u32 v4, vcc_lo, v6, s6
	v_add_co_ci_u32_e32 v5, vcc_lo, s7, v7, vcc_lo
	v_and_b32_e32 v11, 0xffff0000, v0
	v_and_b32_e32 v12, 0xffff0000, v12
	s_mov_b32 s6, 0
	global_load_b64 v[2:3], v[4:5], off
	s_branch .LBB7_99
.LBB7_98:                               ;   in Loop: Header=BB7_99 Depth=1
	s_or_b32 exec_lo, exec_lo, s7
	v_lshrrev_b32_e32 v1, 16, v1
	s_delay_alu instid0(VALU_DEP_2) | instskip(SKIP_1) | instid1(VALU_DEP_2)
	v_and_b32_e32 v14, 0xffff0000, v15
	v_lshrrev_b32_e32 v0, 16, v0
	v_or_b32_e32 v1, v14, v1
	s_delay_alu instid0(VALU_DEP_2)
	v_and_or_b32 v0, 0xffff0000, v13, v0
	global_atomic_cmpswap_b64 v[0:1], v[4:5], v[0:3], off glc
	s_waitcnt vmcnt(0)
	v_cmp_eq_u64_e32 vcc_lo, v[0:1], v[2:3]
	v_dual_mov_b32 v3, v1 :: v_dual_mov_b32 v2, v0
	s_or_b32 s6, vcc_lo, s6
	s_delay_alu instid0(SALU_CYCLE_1)
	s_and_not1_b32 exec_lo, exec_lo, s6
	s_cbranch_execz .LBB7_115
.LBB7_99:                               ; =>This Inner Loop Header: Depth=1
	s_waitcnt vmcnt(0)
	v_lshlrev_b32_e32 v0, 16, v2
	s_delay_alu instid0(VALU_DEP_1) | instskip(NEXT) | instid1(VALU_DEP_1)
	v_add_f32_e32 v1, v11, v0
	v_and_b32_e32 v0, 0x7f800000, v1
	s_delay_alu instid0(VALU_DEP_1) | instskip(SKIP_1) | instid1(SALU_CYCLE_1)
	v_cmp_ne_u32_e32 vcc_lo, 0x7f800000, v0
                                        ; implicit-def: $vgpr0
	s_and_saveexec_b32 s7, vcc_lo
	s_xor_b32 s7, exec_lo, s7
; %bb.100:                              ;   in Loop: Header=BB7_99 Depth=1
	v_bfe_u32 v0, v1, 16, 1
	s_delay_alu instid0(VALU_DEP_1)
	v_add3_u32 v0, v1, v0, 0x7fff
                                        ; implicit-def: $vgpr1
; %bb.101:                              ;   in Loop: Header=BB7_99 Depth=1
	s_and_not1_saveexec_b32 s7, s7
; %bb.102:                              ;   in Loop: Header=BB7_99 Depth=1
	v_and_b32_e32 v0, 0xffff, v1
	v_or_b32_e32 v13, 0x10000, v1
	s_delay_alu instid0(VALU_DEP_2) | instskip(NEXT) | instid1(VALU_DEP_2)
	v_cmp_eq_u32_e32 vcc_lo, 0, v0
	v_cndmask_b32_e32 v0, v13, v1, vcc_lo
; %bb.103:                              ;   in Loop: Header=BB7_99 Depth=1
	s_or_b32 exec_lo, exec_lo, s7
	v_and_b32_e32 v1, 0xffff0000, v2
	s_delay_alu instid0(VALU_DEP_1) | instskip(NEXT) | instid1(VALU_DEP_1)
	v_add_f32_e32 v1, v10, v1
	v_and_b32_e32 v13, 0x7f800000, v1
	s_delay_alu instid0(VALU_DEP_1) | instskip(SKIP_1) | instid1(SALU_CYCLE_1)
	v_cmp_ne_u32_e32 vcc_lo, 0x7f800000, v13
                                        ; implicit-def: $vgpr13
	s_and_saveexec_b32 s7, vcc_lo
	s_xor_b32 s7, exec_lo, s7
; %bb.104:                              ;   in Loop: Header=BB7_99 Depth=1
	v_bfe_u32 v13, v1, 16, 1
	s_delay_alu instid0(VALU_DEP_1)
	v_add3_u32 v13, v1, v13, 0x7fff
                                        ; implicit-def: $vgpr1
; %bb.105:                              ;   in Loop: Header=BB7_99 Depth=1
	s_and_not1_saveexec_b32 s7, s7
; %bb.106:                              ;   in Loop: Header=BB7_99 Depth=1
	v_and_b32_e32 v13, 0xffff, v1
	v_or_b32_e32 v14, 0x10000, v1
	s_delay_alu instid0(VALU_DEP_2) | instskip(NEXT) | instid1(VALU_DEP_2)
	v_cmp_eq_u32_e32 vcc_lo, 0, v13
	v_cndmask_b32_e32 v13, v14, v1, vcc_lo
; %bb.107:                              ;   in Loop: Header=BB7_99 Depth=1
	s_or_b32 exec_lo, exec_lo, s7
	v_alignbit_b32 v1, v3, v2, 16
	s_delay_alu instid0(VALU_DEP_1) | instskip(NEXT) | instid1(VALU_DEP_1)
	v_and_b32_e32 v1, 0xffff0000, v1
	v_add_f32_e32 v14, v9, v1
	s_delay_alu instid0(VALU_DEP_1) | instskip(NEXT) | instid1(VALU_DEP_1)
	v_and_b32_e32 v1, 0x7f800000, v14
	v_cmp_ne_u32_e32 vcc_lo, 0x7f800000, v1
                                        ; implicit-def: $vgpr1
	s_and_saveexec_b32 s7, vcc_lo
	s_delay_alu instid0(SALU_CYCLE_1)
	s_xor_b32 s7, exec_lo, s7
; %bb.108:                              ;   in Loop: Header=BB7_99 Depth=1
	v_bfe_u32 v1, v14, 16, 1
	s_delay_alu instid0(VALU_DEP_1)
	v_add3_u32 v1, v14, v1, 0x7fff
                                        ; implicit-def: $vgpr14
; %bb.109:                              ;   in Loop: Header=BB7_99 Depth=1
	s_and_not1_saveexec_b32 s7, s7
; %bb.110:                              ;   in Loop: Header=BB7_99 Depth=1
	v_and_b32_e32 v1, 0xffff, v14
	v_or_b32_e32 v15, 0x10000, v14
	s_delay_alu instid0(VALU_DEP_2) | instskip(NEXT) | instid1(VALU_DEP_2)
	v_cmp_eq_u32_e32 vcc_lo, 0, v1
	v_cndmask_b32_e32 v1, v15, v14, vcc_lo
; %bb.111:                              ;   in Loop: Header=BB7_99 Depth=1
	s_or_b32 exec_lo, exec_lo, s7
	v_and_b32_e32 v14, 0xffff0000, v3
	s_delay_alu instid0(VALU_DEP_1) | instskip(NEXT) | instid1(VALU_DEP_1)
	v_add_f32_e32 v14, v12, v14
	v_and_b32_e32 v15, 0x7f800000, v14
	s_delay_alu instid0(VALU_DEP_1) | instskip(SKIP_1) | instid1(SALU_CYCLE_1)
	v_cmp_ne_u32_e32 vcc_lo, 0x7f800000, v15
                                        ; implicit-def: $vgpr15
	s_and_saveexec_b32 s7, vcc_lo
	s_xor_b32 s7, exec_lo, s7
; %bb.112:                              ;   in Loop: Header=BB7_99 Depth=1
	v_bfe_u32 v15, v14, 16, 1
	s_delay_alu instid0(VALU_DEP_1)
	v_add3_u32 v15, v14, v15, 0x7fff
                                        ; implicit-def: $vgpr14
; %bb.113:                              ;   in Loop: Header=BB7_99 Depth=1
	s_and_not1_saveexec_b32 s7, s7
	s_cbranch_execz .LBB7_98
; %bb.114:                              ;   in Loop: Header=BB7_99 Depth=1
	v_and_b32_e32 v15, 0xffff, v14
	v_or_b32_e32 v16, 0x10000, v14
	s_delay_alu instid0(VALU_DEP_2) | instskip(NEXT) | instid1(VALU_DEP_2)
	v_cmp_eq_u32_e32 vcc_lo, 0, v15
	v_cndmask_b32_e32 v15, v16, v14, vcc_lo
	s_branch .LBB7_98
.LBB7_115:
	s_or_b32 exec_lo, exec_lo, s6
.LBB7_116:
	s_load_b32 s6, s[0:1], 0x8
	s_waitcnt lgkmcnt(0)
	s_abs_i32 s11, s6
	s_ashr_i32 s7, s6, 31
	s_mul_hi_u32 s12, s11, s10
	s_xor_b32 s14, s7, s8
	s_mul_i32 s13, s12, s9
	s_add_i32 s15, s12, 1
	s_sub_i32 s13, s11, s13
	s_delay_alu instid0(SALU_CYCLE_1)
	s_sub_i32 s16, s13, s9
	s_cmp_ge_u32 s13, s9
	s_cselect_b32 s12, s15, s12
	s_cselect_b32 s13, s16, s13
	s_add_i32 s15, s12, 1
	s_cmp_ge_u32 s13, s9
	s_cselect_b32 s12, s15, s12
	s_delay_alu instid0(SALU_CYCLE_1) | instskip(NEXT) | instid1(SALU_CYCLE_1)
	s_xor_b32 s12, s12, s14
	s_sub_i32 s12, s12, s14
	s_delay_alu instid0(SALU_CYCLE_1)
	s_cmp_ge_i32 s12, s4
	s_cbranch_scc1 .LBB7_156
; %bb.117:
	v_cmp_ne_u32_e32 vcc_lo, 1, v8
	s_cbranch_vccnz .LBB7_119
; %bb.118:
	scratch_load_b128 v[0:3], off, off offset:32
	s_lshl_b64 s[12:13], s[6:7], 2
	s_delay_alu instid0(SALU_CYCLE_1)
	s_add_u32 s12, s24, s12
	s_addc_u32 s13, s25, s13
	s_load_b32 s12, s[12:13], 0x0
	s_waitcnt vmcnt(0) lgkmcnt(0)
	v_dual_mul_f32 v0, s12, v0 :: v_dual_mul_f32 v1, s12, v1
	v_dual_mul_f32 v2, s12, v2 :: v_dual_mul_f32 v3, s12, v3
	scratch_store_b128 off, v[0:3], off offset:32
.LBB7_119:
	s_and_not1_b32 vcc_lo, exec_lo, s5
	s_cbranch_vccnz .LBB7_121
; %bb.120:
	s_abs_i32 s6, s29
	s_delay_alu instid0(SALU_CYCLE_1) | instskip(SKIP_1) | instid1(VALU_DEP_1)
	v_cvt_f32_u32_e32 v0, s6
	s_sub_i32 s13, 0, s6
	v_rcp_iflag_f32_e32 v0, v0
	s_waitcnt_depctr 0xfff
	v_mul_f32_e32 v0, 0x4f7ffffe, v0
	s_delay_alu instid0(VALU_DEP_1) | instskip(NEXT) | instid1(VALU_DEP_1)
	v_cvt_u32_f32_e32 v0, v0
	v_readfirstlane_b32 s12, v0
	s_delay_alu instid0(VALU_DEP_1) | instskip(NEXT) | instid1(SALU_CYCLE_1)
	s_mul_i32 s13, s13, s12
	s_mul_hi_u32 s13, s12, s13
	s_delay_alu instid0(SALU_CYCLE_1)
	s_add_i32 s12, s12, s13
	s_ashr_i32 s13, s29, 31
	s_mul_hi_u32 s12, s11, s12
	s_xor_b32 s7, s7, s13
	s_mul_i32 s14, s12, s6
	s_add_i32 s13, s12, 1
	s_sub_i32 s11, s11, s14
	s_delay_alu instid0(SALU_CYCLE_1)
	s_sub_i32 s14, s11, s6
	s_cmp_ge_u32 s11, s6
	s_cselect_b32 s12, s13, s12
	s_cselect_b32 s11, s14, s11
	s_add_i32 s13, s12, 1
	s_cmp_ge_u32 s11, s6
	s_cselect_b32 s6, s13, s12
	s_delay_alu instid0(SALU_CYCLE_1) | instskip(NEXT) | instid1(SALU_CYCLE_1)
	s_xor_b32 s6, s6, s7
	s_sub_i32 s6, s6, s7
.LBB7_121:
	scratch_load_b32 v1, off, off offset:32
	s_waitcnt vmcnt(0)
	v_and_b32_e32 v0, 0x7f800000, v1
	s_delay_alu instid0(VALU_DEP_1) | instskip(SKIP_1) | instid1(SALU_CYCLE_1)
	v_cmp_ne_u32_e32 vcc_lo, 0x7f800000, v0
                                        ; implicit-def: $vgpr0
	s_and_saveexec_b32 s7, vcc_lo
	s_xor_b32 s7, exec_lo, s7
; %bb.122:
	v_bfe_u32 v0, v1, 16, 1
	s_delay_alu instid0(VALU_DEP_1)
	v_add3_u32 v0, v1, v0, 0x7fff
                                        ; implicit-def: $vgpr1
; %bb.123:
	s_and_not1_saveexec_b32 s7, s7
; %bb.124:
	v_and_b32_e32 v0, 0xffff, v1
	v_or_b32_e32 v2, 0x10000, v1
	s_delay_alu instid0(VALU_DEP_2) | instskip(NEXT) | instid1(VALU_DEP_2)
	v_cmp_eq_u32_e32 vcc_lo, 0, v0
	v_cndmask_b32_e32 v0, v2, v1, vcc_lo
; %bb.125:
	s_or_b32 exec_lo, exec_lo, s7
	scratch_load_b32 v2, off, off offset:36
	s_waitcnt vmcnt(0)
	v_and_b32_e32 v1, 0x7f800000, v2
	s_delay_alu instid0(VALU_DEP_1) | instskip(SKIP_1) | instid1(SALU_CYCLE_1)
	v_cmp_ne_u32_e32 vcc_lo, 0x7f800000, v1
                                        ; implicit-def: $vgpr1
	s_and_saveexec_b32 s7, vcc_lo
	s_xor_b32 s7, exec_lo, s7
; %bb.126:
	v_bfe_u32 v1, v2, 16, 1
	s_delay_alu instid0(VALU_DEP_1)
	v_add3_u32 v1, v2, v1, 0x7fff
                                        ; implicit-def: $vgpr2
; %bb.127:
	s_and_not1_saveexec_b32 s7, s7
; %bb.128:
	v_and_b32_e32 v1, 0xffff, v2
	v_or_b32_e32 v3, 0x10000, v2
	s_delay_alu instid0(VALU_DEP_2) | instskip(NEXT) | instid1(VALU_DEP_2)
	v_cmp_eq_u32_e32 vcc_lo, 0, v1
	v_cndmask_b32_e32 v1, v3, v2, vcc_lo
; %bb.129:
	s_or_b32 exec_lo, exec_lo, s7
	scratch_load_b32 v2, off, off offset:40
	s_mov_b32 s7, exec_lo
                                        ; implicit-def: $vgpr9
	s_waitcnt vmcnt(0)
	v_and_b32_e32 v3, 0x7f800000, v2
	s_delay_alu instid0(VALU_DEP_1)
	v_cmpx_ne_u32_e32 0x7f800000, v3
	s_xor_b32 s7, exec_lo, s7
; %bb.130:
	v_bfe_u32 v3, v2, 16, 1
	s_delay_alu instid0(VALU_DEP_1)
	v_add3_u32 v9, v2, v3, 0x7fff
                                        ; implicit-def: $vgpr2
; %bb.131:
	s_and_not1_saveexec_b32 s7, s7
; %bb.132:
	v_and_b32_e32 v3, 0xffff, v2
	v_or_b32_e32 v4, 0x10000, v2
	s_delay_alu instid0(VALU_DEP_2) | instskip(NEXT) | instid1(VALU_DEP_2)
	v_cmp_eq_u32_e32 vcc_lo, 0, v3
	v_cndmask_b32_e32 v9, v4, v2, vcc_lo
; %bb.133:
	s_or_b32 exec_lo, exec_lo, s7
	scratch_load_b32 v2, off, off offset:44
	s_mov_b32 s7, exec_lo
                                        ; implicit-def: $vgpr12
	s_waitcnt vmcnt(0)
	v_and_b32_e32 v3, 0x7f800000, v2
	s_delay_alu instid0(VALU_DEP_1)
	v_cmpx_ne_u32_e32 0x7f800000, v3
	s_xor_b32 s7, exec_lo, s7
; %bb.134:
	v_bfe_u32 v3, v2, 16, 1
	s_delay_alu instid0(VALU_DEP_1)
	v_add3_u32 v12, v2, v3, 0x7fff
                                        ; implicit-def: $vgpr2
; %bb.135:
	s_and_not1_saveexec_b32 s7, s7
; %bb.136:
	v_and_b32_e32 v3, 0xffff, v2
	v_or_b32_e32 v4, 0x10000, v2
	s_delay_alu instid0(VALU_DEP_2) | instskip(NEXT) | instid1(VALU_DEP_2)
	v_cmp_eq_u32_e32 vcc_lo, 0, v3
	v_cndmask_b32_e32 v12, v4, v2, vcc_lo
; %bb.137:
	s_or_b32 exec_lo, exec_lo, s7
	s_ashr_i32 s7, s6, 31
	s_mul_hi_u32 s11, s2, s6
	s_mul_i32 s7, s2, s7
	s_mul_i32 s12, s3, s6
	s_add_i32 s7, s11, s7
	s_mul_i32 s6, s2, s6
	s_add_i32 s7, s7, s12
	v_and_b32_e32 v9, 0xffff0000, v9
	s_lshl_b64 s[6:7], s[6:7], 1
	v_and_b32_e32 v10, 0xffff0000, v1
	v_add_co_u32 v4, vcc_lo, v6, s6
	v_add_co_ci_u32_e32 v5, vcc_lo, s7, v7, vcc_lo
	v_and_b32_e32 v11, 0xffff0000, v0
	v_and_b32_e32 v12, 0xffff0000, v12
	s_mov_b32 s6, 0
	global_load_b64 v[2:3], v[4:5], off
	s_branch .LBB7_139
.LBB7_138:                              ;   in Loop: Header=BB7_139 Depth=1
	s_or_b32 exec_lo, exec_lo, s7
	v_lshrrev_b32_e32 v1, 16, v1
	s_delay_alu instid0(VALU_DEP_2) | instskip(SKIP_1) | instid1(VALU_DEP_2)
	v_and_b32_e32 v14, 0xffff0000, v15
	v_lshrrev_b32_e32 v0, 16, v0
	v_or_b32_e32 v1, v14, v1
	s_delay_alu instid0(VALU_DEP_2)
	v_and_or_b32 v0, 0xffff0000, v13, v0
	global_atomic_cmpswap_b64 v[0:1], v[4:5], v[0:3], off glc
	s_waitcnt vmcnt(0)
	v_cmp_eq_u64_e32 vcc_lo, v[0:1], v[2:3]
	v_dual_mov_b32 v3, v1 :: v_dual_mov_b32 v2, v0
	s_or_b32 s6, vcc_lo, s6
	s_delay_alu instid0(SALU_CYCLE_1)
	s_and_not1_b32 exec_lo, exec_lo, s6
	s_cbranch_execz .LBB7_155
.LBB7_139:                              ; =>This Inner Loop Header: Depth=1
	s_waitcnt vmcnt(0)
	v_lshlrev_b32_e32 v0, 16, v2
	s_delay_alu instid0(VALU_DEP_1) | instskip(NEXT) | instid1(VALU_DEP_1)
	v_add_f32_e32 v1, v11, v0
	v_and_b32_e32 v0, 0x7f800000, v1
	s_delay_alu instid0(VALU_DEP_1) | instskip(SKIP_1) | instid1(SALU_CYCLE_1)
	v_cmp_ne_u32_e32 vcc_lo, 0x7f800000, v0
                                        ; implicit-def: $vgpr0
	s_and_saveexec_b32 s7, vcc_lo
	s_xor_b32 s7, exec_lo, s7
; %bb.140:                              ;   in Loop: Header=BB7_139 Depth=1
	v_bfe_u32 v0, v1, 16, 1
	s_delay_alu instid0(VALU_DEP_1)
	v_add3_u32 v0, v1, v0, 0x7fff
                                        ; implicit-def: $vgpr1
; %bb.141:                              ;   in Loop: Header=BB7_139 Depth=1
	s_and_not1_saveexec_b32 s7, s7
; %bb.142:                              ;   in Loop: Header=BB7_139 Depth=1
	v_and_b32_e32 v0, 0xffff, v1
	v_or_b32_e32 v13, 0x10000, v1
	s_delay_alu instid0(VALU_DEP_2) | instskip(NEXT) | instid1(VALU_DEP_2)
	v_cmp_eq_u32_e32 vcc_lo, 0, v0
	v_cndmask_b32_e32 v0, v13, v1, vcc_lo
; %bb.143:                              ;   in Loop: Header=BB7_139 Depth=1
	s_or_b32 exec_lo, exec_lo, s7
	v_and_b32_e32 v1, 0xffff0000, v2
	s_delay_alu instid0(VALU_DEP_1) | instskip(NEXT) | instid1(VALU_DEP_1)
	v_add_f32_e32 v1, v10, v1
	v_and_b32_e32 v13, 0x7f800000, v1
	s_delay_alu instid0(VALU_DEP_1) | instskip(SKIP_1) | instid1(SALU_CYCLE_1)
	v_cmp_ne_u32_e32 vcc_lo, 0x7f800000, v13
                                        ; implicit-def: $vgpr13
	s_and_saveexec_b32 s7, vcc_lo
	s_xor_b32 s7, exec_lo, s7
; %bb.144:                              ;   in Loop: Header=BB7_139 Depth=1
	v_bfe_u32 v13, v1, 16, 1
	s_delay_alu instid0(VALU_DEP_1)
	v_add3_u32 v13, v1, v13, 0x7fff
                                        ; implicit-def: $vgpr1
; %bb.145:                              ;   in Loop: Header=BB7_139 Depth=1
	s_and_not1_saveexec_b32 s7, s7
; %bb.146:                              ;   in Loop: Header=BB7_139 Depth=1
	v_and_b32_e32 v13, 0xffff, v1
	v_or_b32_e32 v14, 0x10000, v1
	s_delay_alu instid0(VALU_DEP_2) | instskip(NEXT) | instid1(VALU_DEP_2)
	v_cmp_eq_u32_e32 vcc_lo, 0, v13
	v_cndmask_b32_e32 v13, v14, v1, vcc_lo
; %bb.147:                              ;   in Loop: Header=BB7_139 Depth=1
	s_or_b32 exec_lo, exec_lo, s7
	v_alignbit_b32 v1, v3, v2, 16
	s_delay_alu instid0(VALU_DEP_1) | instskip(NEXT) | instid1(VALU_DEP_1)
	v_and_b32_e32 v1, 0xffff0000, v1
	v_add_f32_e32 v14, v9, v1
	s_delay_alu instid0(VALU_DEP_1) | instskip(NEXT) | instid1(VALU_DEP_1)
	v_and_b32_e32 v1, 0x7f800000, v14
	v_cmp_ne_u32_e32 vcc_lo, 0x7f800000, v1
                                        ; implicit-def: $vgpr1
	s_and_saveexec_b32 s7, vcc_lo
	s_delay_alu instid0(SALU_CYCLE_1)
	s_xor_b32 s7, exec_lo, s7
; %bb.148:                              ;   in Loop: Header=BB7_139 Depth=1
	v_bfe_u32 v1, v14, 16, 1
	s_delay_alu instid0(VALU_DEP_1)
	v_add3_u32 v1, v14, v1, 0x7fff
                                        ; implicit-def: $vgpr14
; %bb.149:                              ;   in Loop: Header=BB7_139 Depth=1
	s_and_not1_saveexec_b32 s7, s7
; %bb.150:                              ;   in Loop: Header=BB7_139 Depth=1
	v_and_b32_e32 v1, 0xffff, v14
	v_or_b32_e32 v15, 0x10000, v14
	s_delay_alu instid0(VALU_DEP_2) | instskip(NEXT) | instid1(VALU_DEP_2)
	v_cmp_eq_u32_e32 vcc_lo, 0, v1
	v_cndmask_b32_e32 v1, v15, v14, vcc_lo
; %bb.151:                              ;   in Loop: Header=BB7_139 Depth=1
	s_or_b32 exec_lo, exec_lo, s7
	v_and_b32_e32 v14, 0xffff0000, v3
	s_delay_alu instid0(VALU_DEP_1) | instskip(NEXT) | instid1(VALU_DEP_1)
	v_add_f32_e32 v14, v12, v14
	v_and_b32_e32 v15, 0x7f800000, v14
	s_delay_alu instid0(VALU_DEP_1) | instskip(SKIP_1) | instid1(SALU_CYCLE_1)
	v_cmp_ne_u32_e32 vcc_lo, 0x7f800000, v15
                                        ; implicit-def: $vgpr15
	s_and_saveexec_b32 s7, vcc_lo
	s_xor_b32 s7, exec_lo, s7
; %bb.152:                              ;   in Loop: Header=BB7_139 Depth=1
	v_bfe_u32 v15, v14, 16, 1
	s_delay_alu instid0(VALU_DEP_1)
	v_add3_u32 v15, v14, v15, 0x7fff
                                        ; implicit-def: $vgpr14
; %bb.153:                              ;   in Loop: Header=BB7_139 Depth=1
	s_and_not1_saveexec_b32 s7, s7
	s_cbranch_execz .LBB7_138
; %bb.154:                              ;   in Loop: Header=BB7_139 Depth=1
	v_and_b32_e32 v15, 0xffff, v14
	v_or_b32_e32 v16, 0x10000, v14
	s_delay_alu instid0(VALU_DEP_2) | instskip(NEXT) | instid1(VALU_DEP_2)
	v_cmp_eq_u32_e32 vcc_lo, 0, v15
	v_cndmask_b32_e32 v15, v16, v14, vcc_lo
	s_branch .LBB7_138
.LBB7_155:
	s_or_b32 exec_lo, exec_lo, s6
.LBB7_156:
	s_load_b32 s6, s[0:1], 0xc
	s_waitcnt lgkmcnt(0)
	s_abs_i32 s11, s6
	s_ashr_i32 s7, s6, 31
	s_mul_hi_u32 s12, s11, s10
	s_xor_b32 s14, s7, s8
	s_mul_i32 s13, s12, s9
	s_add_i32 s15, s12, 1
	s_sub_i32 s13, s11, s13
	s_delay_alu instid0(SALU_CYCLE_1)
	s_sub_i32 s16, s13, s9
	s_cmp_ge_u32 s13, s9
	s_cselect_b32 s12, s15, s12
	s_cselect_b32 s13, s16, s13
	s_add_i32 s15, s12, 1
	s_cmp_ge_u32 s13, s9
	s_cselect_b32 s12, s15, s12
	s_delay_alu instid0(SALU_CYCLE_1) | instskip(NEXT) | instid1(SALU_CYCLE_1)
	s_xor_b32 s12, s12, s14
	s_sub_i32 s12, s12, s14
	s_delay_alu instid0(SALU_CYCLE_1)
	s_cmp_ge_i32 s12, s4
	s_cbranch_scc1 .LBB7_196
; %bb.157:
	v_cmp_ne_u32_e32 vcc_lo, 1, v8
	s_cbranch_vccnz .LBB7_159
; %bb.158:
	scratch_load_b128 v[0:3], off, off offset:48
	s_lshl_b64 s[12:13], s[6:7], 2
	s_delay_alu instid0(SALU_CYCLE_1)
	s_add_u32 s12, s24, s12
	s_addc_u32 s13, s25, s13
	s_load_b32 s12, s[12:13], 0x0
	s_waitcnt vmcnt(0) lgkmcnt(0)
	v_dual_mul_f32 v0, s12, v0 :: v_dual_mul_f32 v1, s12, v1
	v_dual_mul_f32 v2, s12, v2 :: v_dual_mul_f32 v3, s12, v3
	scratch_store_b128 off, v[0:3], off offset:48
.LBB7_159:
	s_and_not1_b32 vcc_lo, exec_lo, s5
	s_cbranch_vccnz .LBB7_161
; %bb.160:
	s_abs_i32 s6, s29
	s_delay_alu instid0(SALU_CYCLE_1) | instskip(SKIP_1) | instid1(VALU_DEP_1)
	v_cvt_f32_u32_e32 v0, s6
	s_sub_i32 s13, 0, s6
	v_rcp_iflag_f32_e32 v0, v0
	s_waitcnt_depctr 0xfff
	v_mul_f32_e32 v0, 0x4f7ffffe, v0
	s_delay_alu instid0(VALU_DEP_1) | instskip(NEXT) | instid1(VALU_DEP_1)
	v_cvt_u32_f32_e32 v0, v0
	v_readfirstlane_b32 s12, v0
	s_delay_alu instid0(VALU_DEP_1) | instskip(NEXT) | instid1(SALU_CYCLE_1)
	s_mul_i32 s13, s13, s12
	s_mul_hi_u32 s13, s12, s13
	s_delay_alu instid0(SALU_CYCLE_1)
	s_add_i32 s12, s12, s13
	s_ashr_i32 s13, s29, 31
	s_mul_hi_u32 s12, s11, s12
	s_xor_b32 s7, s7, s13
	s_mul_i32 s14, s12, s6
	s_add_i32 s13, s12, 1
	s_sub_i32 s11, s11, s14
	s_delay_alu instid0(SALU_CYCLE_1)
	s_sub_i32 s14, s11, s6
	s_cmp_ge_u32 s11, s6
	s_cselect_b32 s12, s13, s12
	s_cselect_b32 s11, s14, s11
	s_add_i32 s13, s12, 1
	s_cmp_ge_u32 s11, s6
	s_cselect_b32 s6, s13, s12
	s_delay_alu instid0(SALU_CYCLE_1) | instskip(NEXT) | instid1(SALU_CYCLE_1)
	s_xor_b32 s6, s6, s7
	s_sub_i32 s6, s6, s7
.LBB7_161:
	scratch_load_b32 v1, off, off offset:48
	s_waitcnt vmcnt(0)
	v_and_b32_e32 v0, 0x7f800000, v1
	s_delay_alu instid0(VALU_DEP_1) | instskip(SKIP_1) | instid1(SALU_CYCLE_1)
	v_cmp_ne_u32_e32 vcc_lo, 0x7f800000, v0
                                        ; implicit-def: $vgpr0
	s_and_saveexec_b32 s7, vcc_lo
	s_xor_b32 s7, exec_lo, s7
; %bb.162:
	v_bfe_u32 v0, v1, 16, 1
	s_delay_alu instid0(VALU_DEP_1)
	v_add3_u32 v0, v1, v0, 0x7fff
                                        ; implicit-def: $vgpr1
; %bb.163:
	s_and_not1_saveexec_b32 s7, s7
; %bb.164:
	v_and_b32_e32 v0, 0xffff, v1
	v_or_b32_e32 v2, 0x10000, v1
	s_delay_alu instid0(VALU_DEP_2) | instskip(NEXT) | instid1(VALU_DEP_2)
	v_cmp_eq_u32_e32 vcc_lo, 0, v0
	v_cndmask_b32_e32 v0, v2, v1, vcc_lo
; %bb.165:
	s_or_b32 exec_lo, exec_lo, s7
	scratch_load_b32 v2, off, off offset:52
	s_waitcnt vmcnt(0)
	v_and_b32_e32 v1, 0x7f800000, v2
	s_delay_alu instid0(VALU_DEP_1) | instskip(SKIP_1) | instid1(SALU_CYCLE_1)
	v_cmp_ne_u32_e32 vcc_lo, 0x7f800000, v1
                                        ; implicit-def: $vgpr1
	s_and_saveexec_b32 s7, vcc_lo
	s_xor_b32 s7, exec_lo, s7
; %bb.166:
	v_bfe_u32 v1, v2, 16, 1
	s_delay_alu instid0(VALU_DEP_1)
	v_add3_u32 v1, v2, v1, 0x7fff
                                        ; implicit-def: $vgpr2
; %bb.167:
	s_and_not1_saveexec_b32 s7, s7
; %bb.168:
	v_and_b32_e32 v1, 0xffff, v2
	v_or_b32_e32 v3, 0x10000, v2
	s_delay_alu instid0(VALU_DEP_2) | instskip(NEXT) | instid1(VALU_DEP_2)
	v_cmp_eq_u32_e32 vcc_lo, 0, v1
	v_cndmask_b32_e32 v1, v3, v2, vcc_lo
; %bb.169:
	s_or_b32 exec_lo, exec_lo, s7
	scratch_load_b32 v2, off, off offset:56
	s_mov_b32 s7, exec_lo
                                        ; implicit-def: $vgpr9
	s_waitcnt vmcnt(0)
	v_and_b32_e32 v3, 0x7f800000, v2
	s_delay_alu instid0(VALU_DEP_1)
	v_cmpx_ne_u32_e32 0x7f800000, v3
	s_xor_b32 s7, exec_lo, s7
; %bb.170:
	v_bfe_u32 v3, v2, 16, 1
	s_delay_alu instid0(VALU_DEP_1)
	v_add3_u32 v9, v2, v3, 0x7fff
                                        ; implicit-def: $vgpr2
; %bb.171:
	s_and_not1_saveexec_b32 s7, s7
; %bb.172:
	v_and_b32_e32 v3, 0xffff, v2
	v_or_b32_e32 v4, 0x10000, v2
	s_delay_alu instid0(VALU_DEP_2) | instskip(NEXT) | instid1(VALU_DEP_2)
	v_cmp_eq_u32_e32 vcc_lo, 0, v3
	v_cndmask_b32_e32 v9, v4, v2, vcc_lo
; %bb.173:
	s_or_b32 exec_lo, exec_lo, s7
	scratch_load_b32 v2, off, off offset:60
	s_mov_b32 s7, exec_lo
                                        ; implicit-def: $vgpr12
	s_waitcnt vmcnt(0)
	v_and_b32_e32 v3, 0x7f800000, v2
	s_delay_alu instid0(VALU_DEP_1)
	v_cmpx_ne_u32_e32 0x7f800000, v3
	s_xor_b32 s7, exec_lo, s7
; %bb.174:
	v_bfe_u32 v3, v2, 16, 1
	s_delay_alu instid0(VALU_DEP_1)
	v_add3_u32 v12, v2, v3, 0x7fff
                                        ; implicit-def: $vgpr2
; %bb.175:
	s_and_not1_saveexec_b32 s7, s7
; %bb.176:
	v_and_b32_e32 v3, 0xffff, v2
	v_or_b32_e32 v4, 0x10000, v2
	s_delay_alu instid0(VALU_DEP_2) | instskip(NEXT) | instid1(VALU_DEP_2)
	v_cmp_eq_u32_e32 vcc_lo, 0, v3
	v_cndmask_b32_e32 v12, v4, v2, vcc_lo
; %bb.177:
	s_or_b32 exec_lo, exec_lo, s7
	s_ashr_i32 s7, s6, 31
	s_mul_hi_u32 s11, s2, s6
	s_mul_i32 s7, s2, s7
	s_mul_i32 s12, s3, s6
	s_add_i32 s7, s11, s7
	s_mul_i32 s6, s2, s6
	s_add_i32 s7, s7, s12
	v_and_b32_e32 v9, 0xffff0000, v9
	s_lshl_b64 s[6:7], s[6:7], 1
	v_and_b32_e32 v10, 0xffff0000, v1
	v_add_co_u32 v4, vcc_lo, v6, s6
	v_add_co_ci_u32_e32 v5, vcc_lo, s7, v7, vcc_lo
	v_and_b32_e32 v11, 0xffff0000, v0
	v_and_b32_e32 v12, 0xffff0000, v12
	s_mov_b32 s6, 0
	global_load_b64 v[2:3], v[4:5], off
	s_branch .LBB7_179
.LBB7_178:                              ;   in Loop: Header=BB7_179 Depth=1
	s_or_b32 exec_lo, exec_lo, s7
	v_lshrrev_b32_e32 v1, 16, v1
	s_delay_alu instid0(VALU_DEP_2) | instskip(SKIP_1) | instid1(VALU_DEP_2)
	v_and_b32_e32 v14, 0xffff0000, v15
	v_lshrrev_b32_e32 v0, 16, v0
	v_or_b32_e32 v1, v14, v1
	s_delay_alu instid0(VALU_DEP_2)
	v_and_or_b32 v0, 0xffff0000, v13, v0
	global_atomic_cmpswap_b64 v[0:1], v[4:5], v[0:3], off glc
	s_waitcnt vmcnt(0)
	v_cmp_eq_u64_e32 vcc_lo, v[0:1], v[2:3]
	v_dual_mov_b32 v3, v1 :: v_dual_mov_b32 v2, v0
	s_or_b32 s6, vcc_lo, s6
	s_delay_alu instid0(SALU_CYCLE_1)
	s_and_not1_b32 exec_lo, exec_lo, s6
	s_cbranch_execz .LBB7_195
.LBB7_179:                              ; =>This Inner Loop Header: Depth=1
	s_waitcnt vmcnt(0)
	v_lshlrev_b32_e32 v0, 16, v2
	s_delay_alu instid0(VALU_DEP_1) | instskip(NEXT) | instid1(VALU_DEP_1)
	v_add_f32_e32 v1, v11, v0
	v_and_b32_e32 v0, 0x7f800000, v1
	s_delay_alu instid0(VALU_DEP_1) | instskip(SKIP_1) | instid1(SALU_CYCLE_1)
	v_cmp_ne_u32_e32 vcc_lo, 0x7f800000, v0
                                        ; implicit-def: $vgpr0
	s_and_saveexec_b32 s7, vcc_lo
	s_xor_b32 s7, exec_lo, s7
; %bb.180:                              ;   in Loop: Header=BB7_179 Depth=1
	v_bfe_u32 v0, v1, 16, 1
	s_delay_alu instid0(VALU_DEP_1)
	v_add3_u32 v0, v1, v0, 0x7fff
                                        ; implicit-def: $vgpr1
; %bb.181:                              ;   in Loop: Header=BB7_179 Depth=1
	s_and_not1_saveexec_b32 s7, s7
; %bb.182:                              ;   in Loop: Header=BB7_179 Depth=1
	v_and_b32_e32 v0, 0xffff, v1
	v_or_b32_e32 v13, 0x10000, v1
	s_delay_alu instid0(VALU_DEP_2) | instskip(NEXT) | instid1(VALU_DEP_2)
	v_cmp_eq_u32_e32 vcc_lo, 0, v0
	v_cndmask_b32_e32 v0, v13, v1, vcc_lo
; %bb.183:                              ;   in Loop: Header=BB7_179 Depth=1
	s_or_b32 exec_lo, exec_lo, s7
	v_and_b32_e32 v1, 0xffff0000, v2
	s_delay_alu instid0(VALU_DEP_1) | instskip(NEXT) | instid1(VALU_DEP_1)
	v_add_f32_e32 v1, v10, v1
	v_and_b32_e32 v13, 0x7f800000, v1
	s_delay_alu instid0(VALU_DEP_1) | instskip(SKIP_1) | instid1(SALU_CYCLE_1)
	v_cmp_ne_u32_e32 vcc_lo, 0x7f800000, v13
                                        ; implicit-def: $vgpr13
	s_and_saveexec_b32 s7, vcc_lo
	s_xor_b32 s7, exec_lo, s7
; %bb.184:                              ;   in Loop: Header=BB7_179 Depth=1
	v_bfe_u32 v13, v1, 16, 1
	s_delay_alu instid0(VALU_DEP_1)
	v_add3_u32 v13, v1, v13, 0x7fff
                                        ; implicit-def: $vgpr1
; %bb.185:                              ;   in Loop: Header=BB7_179 Depth=1
	s_and_not1_saveexec_b32 s7, s7
; %bb.186:                              ;   in Loop: Header=BB7_179 Depth=1
	v_and_b32_e32 v13, 0xffff, v1
	v_or_b32_e32 v14, 0x10000, v1
	s_delay_alu instid0(VALU_DEP_2) | instskip(NEXT) | instid1(VALU_DEP_2)
	v_cmp_eq_u32_e32 vcc_lo, 0, v13
	v_cndmask_b32_e32 v13, v14, v1, vcc_lo
; %bb.187:                              ;   in Loop: Header=BB7_179 Depth=1
	s_or_b32 exec_lo, exec_lo, s7
	v_alignbit_b32 v1, v3, v2, 16
	s_delay_alu instid0(VALU_DEP_1) | instskip(NEXT) | instid1(VALU_DEP_1)
	v_and_b32_e32 v1, 0xffff0000, v1
	v_add_f32_e32 v14, v9, v1
	s_delay_alu instid0(VALU_DEP_1) | instskip(NEXT) | instid1(VALU_DEP_1)
	v_and_b32_e32 v1, 0x7f800000, v14
	v_cmp_ne_u32_e32 vcc_lo, 0x7f800000, v1
                                        ; implicit-def: $vgpr1
	s_and_saveexec_b32 s7, vcc_lo
	s_delay_alu instid0(SALU_CYCLE_1)
	s_xor_b32 s7, exec_lo, s7
; %bb.188:                              ;   in Loop: Header=BB7_179 Depth=1
	v_bfe_u32 v1, v14, 16, 1
	s_delay_alu instid0(VALU_DEP_1)
	v_add3_u32 v1, v14, v1, 0x7fff
                                        ; implicit-def: $vgpr14
; %bb.189:                              ;   in Loop: Header=BB7_179 Depth=1
	s_and_not1_saveexec_b32 s7, s7
; %bb.190:                              ;   in Loop: Header=BB7_179 Depth=1
	v_and_b32_e32 v1, 0xffff, v14
	v_or_b32_e32 v15, 0x10000, v14
	s_delay_alu instid0(VALU_DEP_2) | instskip(NEXT) | instid1(VALU_DEP_2)
	v_cmp_eq_u32_e32 vcc_lo, 0, v1
	v_cndmask_b32_e32 v1, v15, v14, vcc_lo
; %bb.191:                              ;   in Loop: Header=BB7_179 Depth=1
	s_or_b32 exec_lo, exec_lo, s7
	v_and_b32_e32 v14, 0xffff0000, v3
	s_delay_alu instid0(VALU_DEP_1) | instskip(NEXT) | instid1(VALU_DEP_1)
	v_add_f32_e32 v14, v12, v14
	v_and_b32_e32 v15, 0x7f800000, v14
	s_delay_alu instid0(VALU_DEP_1) | instskip(SKIP_1) | instid1(SALU_CYCLE_1)
	v_cmp_ne_u32_e32 vcc_lo, 0x7f800000, v15
                                        ; implicit-def: $vgpr15
	s_and_saveexec_b32 s7, vcc_lo
	s_xor_b32 s7, exec_lo, s7
; %bb.192:                              ;   in Loop: Header=BB7_179 Depth=1
	v_bfe_u32 v15, v14, 16, 1
	s_delay_alu instid0(VALU_DEP_1)
	v_add3_u32 v15, v14, v15, 0x7fff
                                        ; implicit-def: $vgpr14
; %bb.193:                              ;   in Loop: Header=BB7_179 Depth=1
	s_and_not1_saveexec_b32 s7, s7
	s_cbranch_execz .LBB7_178
; %bb.194:                              ;   in Loop: Header=BB7_179 Depth=1
	v_and_b32_e32 v15, 0xffff, v14
	v_or_b32_e32 v16, 0x10000, v14
	s_delay_alu instid0(VALU_DEP_2) | instskip(NEXT) | instid1(VALU_DEP_2)
	v_cmp_eq_u32_e32 vcc_lo, 0, v15
	v_cndmask_b32_e32 v15, v16, v14, vcc_lo
	s_branch .LBB7_178
.LBB7_195:
	s_or_b32 exec_lo, exec_lo, s6
.LBB7_196:
	s_load_b32 s6, s[0:1], 0x10
	s_waitcnt lgkmcnt(0)
	s_abs_i32 s11, s6
	s_ashr_i32 s7, s6, 31
	s_mul_hi_u32 s12, s11, s10
	s_xor_b32 s14, s7, s8
	s_mul_i32 s13, s12, s9
	s_add_i32 s15, s12, 1
	s_sub_i32 s13, s11, s13
	s_delay_alu instid0(SALU_CYCLE_1)
	s_sub_i32 s16, s13, s9
	s_cmp_ge_u32 s13, s9
	s_cselect_b32 s12, s15, s12
	s_cselect_b32 s13, s16, s13
	s_add_i32 s15, s12, 1
	s_cmp_ge_u32 s13, s9
	s_cselect_b32 s12, s15, s12
	s_delay_alu instid0(SALU_CYCLE_1) | instskip(NEXT) | instid1(SALU_CYCLE_1)
	s_xor_b32 s12, s12, s14
	s_sub_i32 s12, s12, s14
	s_delay_alu instid0(SALU_CYCLE_1)
	s_cmp_ge_i32 s12, s4
	s_cbranch_scc1 .LBB7_236
; %bb.197:
	v_cmp_ne_u32_e32 vcc_lo, 1, v8
	s_cbranch_vccnz .LBB7_199
; %bb.198:
	scratch_load_b128 v[0:3], off, off offset:64
	s_lshl_b64 s[12:13], s[6:7], 2
	s_delay_alu instid0(SALU_CYCLE_1)
	s_add_u32 s12, s24, s12
	s_addc_u32 s13, s25, s13
	s_load_b32 s12, s[12:13], 0x0
	s_waitcnt vmcnt(0) lgkmcnt(0)
	v_dual_mul_f32 v0, s12, v0 :: v_dual_mul_f32 v1, s12, v1
	v_dual_mul_f32 v2, s12, v2 :: v_dual_mul_f32 v3, s12, v3
	scratch_store_b128 off, v[0:3], off offset:64
.LBB7_199:
	s_and_not1_b32 vcc_lo, exec_lo, s5
	s_cbranch_vccnz .LBB7_201
; %bb.200:
	s_abs_i32 s6, s29
	s_delay_alu instid0(SALU_CYCLE_1) | instskip(SKIP_1) | instid1(VALU_DEP_1)
	v_cvt_f32_u32_e32 v0, s6
	s_sub_i32 s13, 0, s6
	v_rcp_iflag_f32_e32 v0, v0
	s_waitcnt_depctr 0xfff
	v_mul_f32_e32 v0, 0x4f7ffffe, v0
	s_delay_alu instid0(VALU_DEP_1) | instskip(NEXT) | instid1(VALU_DEP_1)
	v_cvt_u32_f32_e32 v0, v0
	v_readfirstlane_b32 s12, v0
	s_delay_alu instid0(VALU_DEP_1) | instskip(NEXT) | instid1(SALU_CYCLE_1)
	s_mul_i32 s13, s13, s12
	s_mul_hi_u32 s13, s12, s13
	s_delay_alu instid0(SALU_CYCLE_1)
	s_add_i32 s12, s12, s13
	s_ashr_i32 s13, s29, 31
	s_mul_hi_u32 s12, s11, s12
	s_xor_b32 s7, s7, s13
	s_mul_i32 s14, s12, s6
	s_add_i32 s13, s12, 1
	s_sub_i32 s11, s11, s14
	s_delay_alu instid0(SALU_CYCLE_1)
	s_sub_i32 s14, s11, s6
	s_cmp_ge_u32 s11, s6
	s_cselect_b32 s12, s13, s12
	s_cselect_b32 s11, s14, s11
	s_add_i32 s13, s12, 1
	s_cmp_ge_u32 s11, s6
	s_cselect_b32 s6, s13, s12
	s_delay_alu instid0(SALU_CYCLE_1) | instskip(NEXT) | instid1(SALU_CYCLE_1)
	s_xor_b32 s6, s6, s7
	s_sub_i32 s6, s6, s7
.LBB7_201:
	scratch_load_b32 v1, off, off offset:64
	s_waitcnt vmcnt(0)
	v_and_b32_e32 v0, 0x7f800000, v1
	s_delay_alu instid0(VALU_DEP_1) | instskip(SKIP_1) | instid1(SALU_CYCLE_1)
	v_cmp_ne_u32_e32 vcc_lo, 0x7f800000, v0
                                        ; implicit-def: $vgpr0
	s_and_saveexec_b32 s7, vcc_lo
	s_xor_b32 s7, exec_lo, s7
; %bb.202:
	v_bfe_u32 v0, v1, 16, 1
	s_delay_alu instid0(VALU_DEP_1)
	v_add3_u32 v0, v1, v0, 0x7fff
                                        ; implicit-def: $vgpr1
; %bb.203:
	s_and_not1_saveexec_b32 s7, s7
; %bb.204:
	v_and_b32_e32 v0, 0xffff, v1
	v_or_b32_e32 v2, 0x10000, v1
	s_delay_alu instid0(VALU_DEP_2) | instskip(NEXT) | instid1(VALU_DEP_2)
	v_cmp_eq_u32_e32 vcc_lo, 0, v0
	v_cndmask_b32_e32 v0, v2, v1, vcc_lo
; %bb.205:
	s_or_b32 exec_lo, exec_lo, s7
	scratch_load_b32 v2, off, off offset:68
	s_waitcnt vmcnt(0)
	v_and_b32_e32 v1, 0x7f800000, v2
	s_delay_alu instid0(VALU_DEP_1) | instskip(SKIP_1) | instid1(SALU_CYCLE_1)
	v_cmp_ne_u32_e32 vcc_lo, 0x7f800000, v1
                                        ; implicit-def: $vgpr1
	s_and_saveexec_b32 s7, vcc_lo
	s_xor_b32 s7, exec_lo, s7
; %bb.206:
	v_bfe_u32 v1, v2, 16, 1
	s_delay_alu instid0(VALU_DEP_1)
	v_add3_u32 v1, v2, v1, 0x7fff
                                        ; implicit-def: $vgpr2
; %bb.207:
	s_and_not1_saveexec_b32 s7, s7
; %bb.208:
	v_and_b32_e32 v1, 0xffff, v2
	v_or_b32_e32 v3, 0x10000, v2
	s_delay_alu instid0(VALU_DEP_2) | instskip(NEXT) | instid1(VALU_DEP_2)
	v_cmp_eq_u32_e32 vcc_lo, 0, v1
	v_cndmask_b32_e32 v1, v3, v2, vcc_lo
; %bb.209:
	s_or_b32 exec_lo, exec_lo, s7
	scratch_load_b32 v2, off, off offset:72
	s_mov_b32 s7, exec_lo
                                        ; implicit-def: $vgpr9
	s_waitcnt vmcnt(0)
	v_and_b32_e32 v3, 0x7f800000, v2
	s_delay_alu instid0(VALU_DEP_1)
	v_cmpx_ne_u32_e32 0x7f800000, v3
	s_xor_b32 s7, exec_lo, s7
; %bb.210:
	v_bfe_u32 v3, v2, 16, 1
	s_delay_alu instid0(VALU_DEP_1)
	v_add3_u32 v9, v2, v3, 0x7fff
                                        ; implicit-def: $vgpr2
; %bb.211:
	s_and_not1_saveexec_b32 s7, s7
; %bb.212:
	v_and_b32_e32 v3, 0xffff, v2
	v_or_b32_e32 v4, 0x10000, v2
	s_delay_alu instid0(VALU_DEP_2) | instskip(NEXT) | instid1(VALU_DEP_2)
	v_cmp_eq_u32_e32 vcc_lo, 0, v3
	v_cndmask_b32_e32 v9, v4, v2, vcc_lo
; %bb.213:
	s_or_b32 exec_lo, exec_lo, s7
	scratch_load_b32 v2, off, off offset:76
	s_mov_b32 s7, exec_lo
                                        ; implicit-def: $vgpr12
	s_waitcnt vmcnt(0)
	v_and_b32_e32 v3, 0x7f800000, v2
	s_delay_alu instid0(VALU_DEP_1)
	v_cmpx_ne_u32_e32 0x7f800000, v3
	s_xor_b32 s7, exec_lo, s7
; %bb.214:
	v_bfe_u32 v3, v2, 16, 1
	s_delay_alu instid0(VALU_DEP_1)
	v_add3_u32 v12, v2, v3, 0x7fff
                                        ; implicit-def: $vgpr2
; %bb.215:
	s_and_not1_saveexec_b32 s7, s7
; %bb.216:
	v_and_b32_e32 v3, 0xffff, v2
	v_or_b32_e32 v4, 0x10000, v2
	s_delay_alu instid0(VALU_DEP_2) | instskip(NEXT) | instid1(VALU_DEP_2)
	v_cmp_eq_u32_e32 vcc_lo, 0, v3
	v_cndmask_b32_e32 v12, v4, v2, vcc_lo
; %bb.217:
	s_or_b32 exec_lo, exec_lo, s7
	s_ashr_i32 s7, s6, 31
	s_mul_hi_u32 s11, s2, s6
	s_mul_i32 s7, s2, s7
	s_mul_i32 s12, s3, s6
	s_add_i32 s7, s11, s7
	s_mul_i32 s6, s2, s6
	s_add_i32 s7, s7, s12
	v_and_b32_e32 v9, 0xffff0000, v9
	s_lshl_b64 s[6:7], s[6:7], 1
	v_and_b32_e32 v10, 0xffff0000, v1
	v_add_co_u32 v4, vcc_lo, v6, s6
	v_add_co_ci_u32_e32 v5, vcc_lo, s7, v7, vcc_lo
	v_and_b32_e32 v11, 0xffff0000, v0
	v_and_b32_e32 v12, 0xffff0000, v12
	s_mov_b32 s6, 0
	global_load_b64 v[2:3], v[4:5], off
	s_branch .LBB7_219
.LBB7_218:                              ;   in Loop: Header=BB7_219 Depth=1
	s_or_b32 exec_lo, exec_lo, s7
	v_lshrrev_b32_e32 v1, 16, v1
	s_delay_alu instid0(VALU_DEP_2) | instskip(SKIP_1) | instid1(VALU_DEP_2)
	v_and_b32_e32 v14, 0xffff0000, v15
	v_lshrrev_b32_e32 v0, 16, v0
	v_or_b32_e32 v1, v14, v1
	s_delay_alu instid0(VALU_DEP_2)
	v_and_or_b32 v0, 0xffff0000, v13, v0
	global_atomic_cmpswap_b64 v[0:1], v[4:5], v[0:3], off glc
	s_waitcnt vmcnt(0)
	v_cmp_eq_u64_e32 vcc_lo, v[0:1], v[2:3]
	v_dual_mov_b32 v3, v1 :: v_dual_mov_b32 v2, v0
	s_or_b32 s6, vcc_lo, s6
	s_delay_alu instid0(SALU_CYCLE_1)
	s_and_not1_b32 exec_lo, exec_lo, s6
	s_cbranch_execz .LBB7_235
.LBB7_219:                              ; =>This Inner Loop Header: Depth=1
	s_waitcnt vmcnt(0)
	v_lshlrev_b32_e32 v0, 16, v2
	s_delay_alu instid0(VALU_DEP_1) | instskip(NEXT) | instid1(VALU_DEP_1)
	v_add_f32_e32 v1, v11, v0
	v_and_b32_e32 v0, 0x7f800000, v1
	s_delay_alu instid0(VALU_DEP_1) | instskip(SKIP_1) | instid1(SALU_CYCLE_1)
	v_cmp_ne_u32_e32 vcc_lo, 0x7f800000, v0
                                        ; implicit-def: $vgpr0
	s_and_saveexec_b32 s7, vcc_lo
	s_xor_b32 s7, exec_lo, s7
; %bb.220:                              ;   in Loop: Header=BB7_219 Depth=1
	v_bfe_u32 v0, v1, 16, 1
	s_delay_alu instid0(VALU_DEP_1)
	v_add3_u32 v0, v1, v0, 0x7fff
                                        ; implicit-def: $vgpr1
; %bb.221:                              ;   in Loop: Header=BB7_219 Depth=1
	s_and_not1_saveexec_b32 s7, s7
; %bb.222:                              ;   in Loop: Header=BB7_219 Depth=1
	v_and_b32_e32 v0, 0xffff, v1
	v_or_b32_e32 v13, 0x10000, v1
	s_delay_alu instid0(VALU_DEP_2) | instskip(NEXT) | instid1(VALU_DEP_2)
	v_cmp_eq_u32_e32 vcc_lo, 0, v0
	v_cndmask_b32_e32 v0, v13, v1, vcc_lo
; %bb.223:                              ;   in Loop: Header=BB7_219 Depth=1
	s_or_b32 exec_lo, exec_lo, s7
	v_and_b32_e32 v1, 0xffff0000, v2
	s_delay_alu instid0(VALU_DEP_1) | instskip(NEXT) | instid1(VALU_DEP_1)
	v_add_f32_e32 v1, v10, v1
	v_and_b32_e32 v13, 0x7f800000, v1
	s_delay_alu instid0(VALU_DEP_1) | instskip(SKIP_1) | instid1(SALU_CYCLE_1)
	v_cmp_ne_u32_e32 vcc_lo, 0x7f800000, v13
                                        ; implicit-def: $vgpr13
	s_and_saveexec_b32 s7, vcc_lo
	s_xor_b32 s7, exec_lo, s7
; %bb.224:                              ;   in Loop: Header=BB7_219 Depth=1
	v_bfe_u32 v13, v1, 16, 1
	s_delay_alu instid0(VALU_DEP_1)
	v_add3_u32 v13, v1, v13, 0x7fff
                                        ; implicit-def: $vgpr1
; %bb.225:                              ;   in Loop: Header=BB7_219 Depth=1
	s_and_not1_saveexec_b32 s7, s7
; %bb.226:                              ;   in Loop: Header=BB7_219 Depth=1
	v_and_b32_e32 v13, 0xffff, v1
	v_or_b32_e32 v14, 0x10000, v1
	s_delay_alu instid0(VALU_DEP_2) | instskip(NEXT) | instid1(VALU_DEP_2)
	v_cmp_eq_u32_e32 vcc_lo, 0, v13
	v_cndmask_b32_e32 v13, v14, v1, vcc_lo
; %bb.227:                              ;   in Loop: Header=BB7_219 Depth=1
	s_or_b32 exec_lo, exec_lo, s7
	v_alignbit_b32 v1, v3, v2, 16
	s_delay_alu instid0(VALU_DEP_1) | instskip(NEXT) | instid1(VALU_DEP_1)
	v_and_b32_e32 v1, 0xffff0000, v1
	v_add_f32_e32 v14, v9, v1
	s_delay_alu instid0(VALU_DEP_1) | instskip(NEXT) | instid1(VALU_DEP_1)
	v_and_b32_e32 v1, 0x7f800000, v14
	v_cmp_ne_u32_e32 vcc_lo, 0x7f800000, v1
                                        ; implicit-def: $vgpr1
	s_and_saveexec_b32 s7, vcc_lo
	s_delay_alu instid0(SALU_CYCLE_1)
	s_xor_b32 s7, exec_lo, s7
; %bb.228:                              ;   in Loop: Header=BB7_219 Depth=1
	v_bfe_u32 v1, v14, 16, 1
	s_delay_alu instid0(VALU_DEP_1)
	v_add3_u32 v1, v14, v1, 0x7fff
                                        ; implicit-def: $vgpr14
; %bb.229:                              ;   in Loop: Header=BB7_219 Depth=1
	s_and_not1_saveexec_b32 s7, s7
; %bb.230:                              ;   in Loop: Header=BB7_219 Depth=1
	v_and_b32_e32 v1, 0xffff, v14
	v_or_b32_e32 v15, 0x10000, v14
	s_delay_alu instid0(VALU_DEP_2) | instskip(NEXT) | instid1(VALU_DEP_2)
	v_cmp_eq_u32_e32 vcc_lo, 0, v1
	v_cndmask_b32_e32 v1, v15, v14, vcc_lo
; %bb.231:                              ;   in Loop: Header=BB7_219 Depth=1
	s_or_b32 exec_lo, exec_lo, s7
	v_and_b32_e32 v14, 0xffff0000, v3
	s_delay_alu instid0(VALU_DEP_1) | instskip(NEXT) | instid1(VALU_DEP_1)
	v_add_f32_e32 v14, v12, v14
	v_and_b32_e32 v15, 0x7f800000, v14
	s_delay_alu instid0(VALU_DEP_1) | instskip(SKIP_1) | instid1(SALU_CYCLE_1)
	v_cmp_ne_u32_e32 vcc_lo, 0x7f800000, v15
                                        ; implicit-def: $vgpr15
	s_and_saveexec_b32 s7, vcc_lo
	s_xor_b32 s7, exec_lo, s7
; %bb.232:                              ;   in Loop: Header=BB7_219 Depth=1
	v_bfe_u32 v15, v14, 16, 1
	s_delay_alu instid0(VALU_DEP_1)
	v_add3_u32 v15, v14, v15, 0x7fff
                                        ; implicit-def: $vgpr14
; %bb.233:                              ;   in Loop: Header=BB7_219 Depth=1
	s_and_not1_saveexec_b32 s7, s7
	s_cbranch_execz .LBB7_218
; %bb.234:                              ;   in Loop: Header=BB7_219 Depth=1
	v_and_b32_e32 v15, 0xffff, v14
	v_or_b32_e32 v16, 0x10000, v14
	s_delay_alu instid0(VALU_DEP_2) | instskip(NEXT) | instid1(VALU_DEP_2)
	v_cmp_eq_u32_e32 vcc_lo, 0, v15
	v_cndmask_b32_e32 v15, v16, v14, vcc_lo
	s_branch .LBB7_218
.LBB7_235:
	s_or_b32 exec_lo, exec_lo, s6
.LBB7_236:
	s_load_b32 s6, s[0:1], 0x14
	s_waitcnt lgkmcnt(0)
	s_abs_i32 s11, s6
	s_ashr_i32 s7, s6, 31
	s_mul_hi_u32 s12, s11, s10
	s_xor_b32 s14, s7, s8
	s_mul_i32 s13, s12, s9
	s_add_i32 s15, s12, 1
	s_sub_i32 s13, s11, s13
	s_delay_alu instid0(SALU_CYCLE_1)
	s_sub_i32 s16, s13, s9
	s_cmp_ge_u32 s13, s9
	s_cselect_b32 s12, s15, s12
	s_cselect_b32 s13, s16, s13
	s_add_i32 s15, s12, 1
	s_cmp_ge_u32 s13, s9
	s_cselect_b32 s12, s15, s12
	s_delay_alu instid0(SALU_CYCLE_1) | instskip(NEXT) | instid1(SALU_CYCLE_1)
	s_xor_b32 s12, s12, s14
	s_sub_i32 s12, s12, s14
	s_delay_alu instid0(SALU_CYCLE_1)
	s_cmp_ge_i32 s12, s4
	s_cbranch_scc1 .LBB7_276
; %bb.237:
	v_cmp_ne_u32_e32 vcc_lo, 1, v8
	s_cbranch_vccnz .LBB7_239
; %bb.238:
	scratch_load_b128 v[0:3], off, off offset:80
	s_lshl_b64 s[12:13], s[6:7], 2
	s_delay_alu instid0(SALU_CYCLE_1)
	s_add_u32 s12, s24, s12
	s_addc_u32 s13, s25, s13
	s_load_b32 s12, s[12:13], 0x0
	s_waitcnt vmcnt(0) lgkmcnt(0)
	v_dual_mul_f32 v0, s12, v0 :: v_dual_mul_f32 v1, s12, v1
	v_dual_mul_f32 v2, s12, v2 :: v_dual_mul_f32 v3, s12, v3
	scratch_store_b128 off, v[0:3], off offset:80
.LBB7_239:
	s_and_not1_b32 vcc_lo, exec_lo, s5
	s_cbranch_vccnz .LBB7_241
; %bb.240:
	s_abs_i32 s6, s29
	s_delay_alu instid0(SALU_CYCLE_1) | instskip(SKIP_1) | instid1(VALU_DEP_1)
	v_cvt_f32_u32_e32 v0, s6
	s_sub_i32 s13, 0, s6
	v_rcp_iflag_f32_e32 v0, v0
	s_waitcnt_depctr 0xfff
	v_mul_f32_e32 v0, 0x4f7ffffe, v0
	s_delay_alu instid0(VALU_DEP_1) | instskip(NEXT) | instid1(VALU_DEP_1)
	v_cvt_u32_f32_e32 v0, v0
	v_readfirstlane_b32 s12, v0
	s_delay_alu instid0(VALU_DEP_1) | instskip(NEXT) | instid1(SALU_CYCLE_1)
	s_mul_i32 s13, s13, s12
	s_mul_hi_u32 s13, s12, s13
	s_delay_alu instid0(SALU_CYCLE_1)
	s_add_i32 s12, s12, s13
	s_ashr_i32 s13, s29, 31
	s_mul_hi_u32 s12, s11, s12
	s_xor_b32 s7, s7, s13
	s_mul_i32 s14, s12, s6
	s_add_i32 s13, s12, 1
	s_sub_i32 s11, s11, s14
	s_delay_alu instid0(SALU_CYCLE_1)
	s_sub_i32 s14, s11, s6
	s_cmp_ge_u32 s11, s6
	s_cselect_b32 s12, s13, s12
	s_cselect_b32 s11, s14, s11
	s_add_i32 s13, s12, 1
	s_cmp_ge_u32 s11, s6
	s_cselect_b32 s6, s13, s12
	s_delay_alu instid0(SALU_CYCLE_1) | instskip(NEXT) | instid1(SALU_CYCLE_1)
	s_xor_b32 s6, s6, s7
	s_sub_i32 s6, s6, s7
.LBB7_241:
	scratch_load_b32 v1, off, off offset:80
	s_waitcnt vmcnt(0)
	v_and_b32_e32 v0, 0x7f800000, v1
	s_delay_alu instid0(VALU_DEP_1) | instskip(SKIP_1) | instid1(SALU_CYCLE_1)
	v_cmp_ne_u32_e32 vcc_lo, 0x7f800000, v0
                                        ; implicit-def: $vgpr0
	s_and_saveexec_b32 s7, vcc_lo
	s_xor_b32 s7, exec_lo, s7
; %bb.242:
	v_bfe_u32 v0, v1, 16, 1
	s_delay_alu instid0(VALU_DEP_1)
	v_add3_u32 v0, v1, v0, 0x7fff
                                        ; implicit-def: $vgpr1
; %bb.243:
	s_and_not1_saveexec_b32 s7, s7
; %bb.244:
	v_and_b32_e32 v0, 0xffff, v1
	v_or_b32_e32 v2, 0x10000, v1
	s_delay_alu instid0(VALU_DEP_2) | instskip(NEXT) | instid1(VALU_DEP_2)
	v_cmp_eq_u32_e32 vcc_lo, 0, v0
	v_cndmask_b32_e32 v0, v2, v1, vcc_lo
; %bb.245:
	s_or_b32 exec_lo, exec_lo, s7
	scratch_load_b32 v2, off, off offset:84
	s_waitcnt vmcnt(0)
	v_and_b32_e32 v1, 0x7f800000, v2
	s_delay_alu instid0(VALU_DEP_1) | instskip(SKIP_1) | instid1(SALU_CYCLE_1)
	v_cmp_ne_u32_e32 vcc_lo, 0x7f800000, v1
                                        ; implicit-def: $vgpr1
	s_and_saveexec_b32 s7, vcc_lo
	s_xor_b32 s7, exec_lo, s7
; %bb.246:
	v_bfe_u32 v1, v2, 16, 1
	s_delay_alu instid0(VALU_DEP_1)
	v_add3_u32 v1, v2, v1, 0x7fff
                                        ; implicit-def: $vgpr2
; %bb.247:
	s_and_not1_saveexec_b32 s7, s7
; %bb.248:
	v_and_b32_e32 v1, 0xffff, v2
	v_or_b32_e32 v3, 0x10000, v2
	s_delay_alu instid0(VALU_DEP_2) | instskip(NEXT) | instid1(VALU_DEP_2)
	v_cmp_eq_u32_e32 vcc_lo, 0, v1
	v_cndmask_b32_e32 v1, v3, v2, vcc_lo
; %bb.249:
	s_or_b32 exec_lo, exec_lo, s7
	scratch_load_b32 v2, off, off offset:88
	s_mov_b32 s7, exec_lo
                                        ; implicit-def: $vgpr9
	s_waitcnt vmcnt(0)
	v_and_b32_e32 v3, 0x7f800000, v2
	s_delay_alu instid0(VALU_DEP_1)
	v_cmpx_ne_u32_e32 0x7f800000, v3
	s_xor_b32 s7, exec_lo, s7
; %bb.250:
	v_bfe_u32 v3, v2, 16, 1
	s_delay_alu instid0(VALU_DEP_1)
	v_add3_u32 v9, v2, v3, 0x7fff
                                        ; implicit-def: $vgpr2
; %bb.251:
	s_and_not1_saveexec_b32 s7, s7
; %bb.252:
	v_and_b32_e32 v3, 0xffff, v2
	v_or_b32_e32 v4, 0x10000, v2
	s_delay_alu instid0(VALU_DEP_2) | instskip(NEXT) | instid1(VALU_DEP_2)
	v_cmp_eq_u32_e32 vcc_lo, 0, v3
	v_cndmask_b32_e32 v9, v4, v2, vcc_lo
; %bb.253:
	s_or_b32 exec_lo, exec_lo, s7
	scratch_load_b32 v2, off, off offset:92
	s_mov_b32 s7, exec_lo
                                        ; implicit-def: $vgpr12
	s_waitcnt vmcnt(0)
	v_and_b32_e32 v3, 0x7f800000, v2
	s_delay_alu instid0(VALU_DEP_1)
	v_cmpx_ne_u32_e32 0x7f800000, v3
	s_xor_b32 s7, exec_lo, s7
; %bb.254:
	v_bfe_u32 v3, v2, 16, 1
	s_delay_alu instid0(VALU_DEP_1)
	v_add3_u32 v12, v2, v3, 0x7fff
                                        ; implicit-def: $vgpr2
; %bb.255:
	s_and_not1_saveexec_b32 s7, s7
; %bb.256:
	v_and_b32_e32 v3, 0xffff, v2
	v_or_b32_e32 v4, 0x10000, v2
	s_delay_alu instid0(VALU_DEP_2) | instskip(NEXT) | instid1(VALU_DEP_2)
	v_cmp_eq_u32_e32 vcc_lo, 0, v3
	v_cndmask_b32_e32 v12, v4, v2, vcc_lo
; %bb.257:
	s_or_b32 exec_lo, exec_lo, s7
	s_ashr_i32 s7, s6, 31
	s_mul_hi_u32 s11, s2, s6
	s_mul_i32 s7, s2, s7
	s_mul_i32 s12, s3, s6
	s_add_i32 s7, s11, s7
	s_mul_i32 s6, s2, s6
	s_add_i32 s7, s7, s12
	v_and_b32_e32 v9, 0xffff0000, v9
	s_lshl_b64 s[6:7], s[6:7], 1
	v_and_b32_e32 v10, 0xffff0000, v1
	v_add_co_u32 v4, vcc_lo, v6, s6
	v_add_co_ci_u32_e32 v5, vcc_lo, s7, v7, vcc_lo
	v_and_b32_e32 v11, 0xffff0000, v0
	v_and_b32_e32 v12, 0xffff0000, v12
	s_mov_b32 s6, 0
	global_load_b64 v[2:3], v[4:5], off
	s_branch .LBB7_259
.LBB7_258:                              ;   in Loop: Header=BB7_259 Depth=1
	s_or_b32 exec_lo, exec_lo, s7
	v_lshrrev_b32_e32 v1, 16, v1
	s_delay_alu instid0(VALU_DEP_2) | instskip(SKIP_1) | instid1(VALU_DEP_2)
	v_and_b32_e32 v14, 0xffff0000, v15
	v_lshrrev_b32_e32 v0, 16, v0
	v_or_b32_e32 v1, v14, v1
	s_delay_alu instid0(VALU_DEP_2)
	v_and_or_b32 v0, 0xffff0000, v13, v0
	global_atomic_cmpswap_b64 v[0:1], v[4:5], v[0:3], off glc
	s_waitcnt vmcnt(0)
	v_cmp_eq_u64_e32 vcc_lo, v[0:1], v[2:3]
	v_dual_mov_b32 v3, v1 :: v_dual_mov_b32 v2, v0
	s_or_b32 s6, vcc_lo, s6
	s_delay_alu instid0(SALU_CYCLE_1)
	s_and_not1_b32 exec_lo, exec_lo, s6
	s_cbranch_execz .LBB7_275
.LBB7_259:                              ; =>This Inner Loop Header: Depth=1
	s_waitcnt vmcnt(0)
	v_lshlrev_b32_e32 v0, 16, v2
	s_delay_alu instid0(VALU_DEP_1) | instskip(NEXT) | instid1(VALU_DEP_1)
	v_add_f32_e32 v1, v11, v0
	v_and_b32_e32 v0, 0x7f800000, v1
	s_delay_alu instid0(VALU_DEP_1) | instskip(SKIP_1) | instid1(SALU_CYCLE_1)
	v_cmp_ne_u32_e32 vcc_lo, 0x7f800000, v0
                                        ; implicit-def: $vgpr0
	s_and_saveexec_b32 s7, vcc_lo
	s_xor_b32 s7, exec_lo, s7
; %bb.260:                              ;   in Loop: Header=BB7_259 Depth=1
	v_bfe_u32 v0, v1, 16, 1
	s_delay_alu instid0(VALU_DEP_1)
	v_add3_u32 v0, v1, v0, 0x7fff
                                        ; implicit-def: $vgpr1
; %bb.261:                              ;   in Loop: Header=BB7_259 Depth=1
	s_and_not1_saveexec_b32 s7, s7
; %bb.262:                              ;   in Loop: Header=BB7_259 Depth=1
	v_and_b32_e32 v0, 0xffff, v1
	v_or_b32_e32 v13, 0x10000, v1
	s_delay_alu instid0(VALU_DEP_2) | instskip(NEXT) | instid1(VALU_DEP_2)
	v_cmp_eq_u32_e32 vcc_lo, 0, v0
	v_cndmask_b32_e32 v0, v13, v1, vcc_lo
; %bb.263:                              ;   in Loop: Header=BB7_259 Depth=1
	s_or_b32 exec_lo, exec_lo, s7
	v_and_b32_e32 v1, 0xffff0000, v2
	s_delay_alu instid0(VALU_DEP_1) | instskip(NEXT) | instid1(VALU_DEP_1)
	v_add_f32_e32 v1, v10, v1
	v_and_b32_e32 v13, 0x7f800000, v1
	s_delay_alu instid0(VALU_DEP_1) | instskip(SKIP_1) | instid1(SALU_CYCLE_1)
	v_cmp_ne_u32_e32 vcc_lo, 0x7f800000, v13
                                        ; implicit-def: $vgpr13
	s_and_saveexec_b32 s7, vcc_lo
	s_xor_b32 s7, exec_lo, s7
; %bb.264:                              ;   in Loop: Header=BB7_259 Depth=1
	v_bfe_u32 v13, v1, 16, 1
	s_delay_alu instid0(VALU_DEP_1)
	v_add3_u32 v13, v1, v13, 0x7fff
                                        ; implicit-def: $vgpr1
; %bb.265:                              ;   in Loop: Header=BB7_259 Depth=1
	s_and_not1_saveexec_b32 s7, s7
; %bb.266:                              ;   in Loop: Header=BB7_259 Depth=1
	v_and_b32_e32 v13, 0xffff, v1
	v_or_b32_e32 v14, 0x10000, v1
	s_delay_alu instid0(VALU_DEP_2) | instskip(NEXT) | instid1(VALU_DEP_2)
	v_cmp_eq_u32_e32 vcc_lo, 0, v13
	v_cndmask_b32_e32 v13, v14, v1, vcc_lo
; %bb.267:                              ;   in Loop: Header=BB7_259 Depth=1
	s_or_b32 exec_lo, exec_lo, s7
	v_alignbit_b32 v1, v3, v2, 16
	s_delay_alu instid0(VALU_DEP_1) | instskip(NEXT) | instid1(VALU_DEP_1)
	v_and_b32_e32 v1, 0xffff0000, v1
	v_add_f32_e32 v14, v9, v1
	s_delay_alu instid0(VALU_DEP_1) | instskip(NEXT) | instid1(VALU_DEP_1)
	v_and_b32_e32 v1, 0x7f800000, v14
	v_cmp_ne_u32_e32 vcc_lo, 0x7f800000, v1
                                        ; implicit-def: $vgpr1
	s_and_saveexec_b32 s7, vcc_lo
	s_delay_alu instid0(SALU_CYCLE_1)
	s_xor_b32 s7, exec_lo, s7
; %bb.268:                              ;   in Loop: Header=BB7_259 Depth=1
	v_bfe_u32 v1, v14, 16, 1
	s_delay_alu instid0(VALU_DEP_1)
	v_add3_u32 v1, v14, v1, 0x7fff
                                        ; implicit-def: $vgpr14
; %bb.269:                              ;   in Loop: Header=BB7_259 Depth=1
	s_and_not1_saveexec_b32 s7, s7
; %bb.270:                              ;   in Loop: Header=BB7_259 Depth=1
	v_and_b32_e32 v1, 0xffff, v14
	v_or_b32_e32 v15, 0x10000, v14
	s_delay_alu instid0(VALU_DEP_2) | instskip(NEXT) | instid1(VALU_DEP_2)
	v_cmp_eq_u32_e32 vcc_lo, 0, v1
	v_cndmask_b32_e32 v1, v15, v14, vcc_lo
; %bb.271:                              ;   in Loop: Header=BB7_259 Depth=1
	s_or_b32 exec_lo, exec_lo, s7
	v_and_b32_e32 v14, 0xffff0000, v3
	s_delay_alu instid0(VALU_DEP_1) | instskip(NEXT) | instid1(VALU_DEP_1)
	v_add_f32_e32 v14, v12, v14
	v_and_b32_e32 v15, 0x7f800000, v14
	s_delay_alu instid0(VALU_DEP_1) | instskip(SKIP_1) | instid1(SALU_CYCLE_1)
	v_cmp_ne_u32_e32 vcc_lo, 0x7f800000, v15
                                        ; implicit-def: $vgpr15
	s_and_saveexec_b32 s7, vcc_lo
	s_xor_b32 s7, exec_lo, s7
; %bb.272:                              ;   in Loop: Header=BB7_259 Depth=1
	v_bfe_u32 v15, v14, 16, 1
	s_delay_alu instid0(VALU_DEP_1)
	v_add3_u32 v15, v14, v15, 0x7fff
                                        ; implicit-def: $vgpr14
; %bb.273:                              ;   in Loop: Header=BB7_259 Depth=1
	s_and_not1_saveexec_b32 s7, s7
	s_cbranch_execz .LBB7_258
; %bb.274:                              ;   in Loop: Header=BB7_259 Depth=1
	v_and_b32_e32 v15, 0xffff, v14
	v_or_b32_e32 v16, 0x10000, v14
	s_delay_alu instid0(VALU_DEP_2) | instskip(NEXT) | instid1(VALU_DEP_2)
	v_cmp_eq_u32_e32 vcc_lo, 0, v15
	v_cndmask_b32_e32 v15, v16, v14, vcc_lo
	s_branch .LBB7_258
.LBB7_275:
	s_or_b32 exec_lo, exec_lo, s6
.LBB7_276:
	s_load_b32 s6, s[0:1], 0x18
	s_waitcnt lgkmcnt(0)
	s_abs_i32 s11, s6
	s_ashr_i32 s7, s6, 31
	s_mul_hi_u32 s12, s11, s10
	s_xor_b32 s14, s7, s8
	s_mul_i32 s13, s12, s9
	s_add_i32 s15, s12, 1
	s_sub_i32 s13, s11, s13
	s_delay_alu instid0(SALU_CYCLE_1)
	s_sub_i32 s16, s13, s9
	s_cmp_ge_u32 s13, s9
	s_cselect_b32 s12, s15, s12
	s_cselect_b32 s13, s16, s13
	s_add_i32 s15, s12, 1
	s_cmp_ge_u32 s13, s9
	s_cselect_b32 s12, s15, s12
	s_delay_alu instid0(SALU_CYCLE_1) | instskip(NEXT) | instid1(SALU_CYCLE_1)
	s_xor_b32 s12, s12, s14
	s_sub_i32 s12, s12, s14
	s_delay_alu instid0(SALU_CYCLE_1)
	s_cmp_ge_i32 s12, s4
	s_cbranch_scc1 .LBB7_316
; %bb.277:
	v_cmp_ne_u32_e32 vcc_lo, 1, v8
	s_cbranch_vccnz .LBB7_279
; %bb.278:
	scratch_load_b128 v[0:3], off, off offset:96
	s_lshl_b64 s[12:13], s[6:7], 2
	s_delay_alu instid0(SALU_CYCLE_1)
	s_add_u32 s12, s24, s12
	s_addc_u32 s13, s25, s13
	s_load_b32 s12, s[12:13], 0x0
	s_waitcnt vmcnt(0) lgkmcnt(0)
	v_dual_mul_f32 v0, s12, v0 :: v_dual_mul_f32 v1, s12, v1
	v_dual_mul_f32 v2, s12, v2 :: v_dual_mul_f32 v3, s12, v3
	scratch_store_b128 off, v[0:3], off offset:96
.LBB7_279:
	s_and_not1_b32 vcc_lo, exec_lo, s5
	s_cbranch_vccnz .LBB7_281
; %bb.280:
	s_abs_i32 s6, s29
	s_delay_alu instid0(SALU_CYCLE_1) | instskip(SKIP_1) | instid1(VALU_DEP_1)
	v_cvt_f32_u32_e32 v0, s6
	s_sub_i32 s13, 0, s6
	v_rcp_iflag_f32_e32 v0, v0
	s_waitcnt_depctr 0xfff
	v_mul_f32_e32 v0, 0x4f7ffffe, v0
	s_delay_alu instid0(VALU_DEP_1) | instskip(NEXT) | instid1(VALU_DEP_1)
	v_cvt_u32_f32_e32 v0, v0
	v_readfirstlane_b32 s12, v0
	s_delay_alu instid0(VALU_DEP_1) | instskip(NEXT) | instid1(SALU_CYCLE_1)
	s_mul_i32 s13, s13, s12
	s_mul_hi_u32 s13, s12, s13
	s_delay_alu instid0(SALU_CYCLE_1)
	s_add_i32 s12, s12, s13
	s_ashr_i32 s13, s29, 31
	s_mul_hi_u32 s12, s11, s12
	s_xor_b32 s7, s7, s13
	s_mul_i32 s14, s12, s6
	s_add_i32 s13, s12, 1
	s_sub_i32 s11, s11, s14
	s_delay_alu instid0(SALU_CYCLE_1)
	s_sub_i32 s14, s11, s6
	s_cmp_ge_u32 s11, s6
	s_cselect_b32 s12, s13, s12
	s_cselect_b32 s11, s14, s11
	s_add_i32 s13, s12, 1
	s_cmp_ge_u32 s11, s6
	s_cselect_b32 s6, s13, s12
	s_delay_alu instid0(SALU_CYCLE_1) | instskip(NEXT) | instid1(SALU_CYCLE_1)
	s_xor_b32 s6, s6, s7
	s_sub_i32 s6, s6, s7
.LBB7_281:
	scratch_load_b32 v1, off, off offset:96
	s_waitcnt vmcnt(0)
	v_and_b32_e32 v0, 0x7f800000, v1
	s_delay_alu instid0(VALU_DEP_1) | instskip(SKIP_1) | instid1(SALU_CYCLE_1)
	v_cmp_ne_u32_e32 vcc_lo, 0x7f800000, v0
                                        ; implicit-def: $vgpr0
	s_and_saveexec_b32 s7, vcc_lo
	s_xor_b32 s7, exec_lo, s7
; %bb.282:
	v_bfe_u32 v0, v1, 16, 1
	s_delay_alu instid0(VALU_DEP_1)
	v_add3_u32 v0, v1, v0, 0x7fff
                                        ; implicit-def: $vgpr1
; %bb.283:
	s_and_not1_saveexec_b32 s7, s7
; %bb.284:
	v_and_b32_e32 v0, 0xffff, v1
	v_or_b32_e32 v2, 0x10000, v1
	s_delay_alu instid0(VALU_DEP_2) | instskip(NEXT) | instid1(VALU_DEP_2)
	v_cmp_eq_u32_e32 vcc_lo, 0, v0
	v_cndmask_b32_e32 v0, v2, v1, vcc_lo
; %bb.285:
	s_or_b32 exec_lo, exec_lo, s7
	scratch_load_b32 v2, off, off offset:100
	s_waitcnt vmcnt(0)
	v_and_b32_e32 v1, 0x7f800000, v2
	s_delay_alu instid0(VALU_DEP_1) | instskip(SKIP_1) | instid1(SALU_CYCLE_1)
	v_cmp_ne_u32_e32 vcc_lo, 0x7f800000, v1
                                        ; implicit-def: $vgpr1
	s_and_saveexec_b32 s7, vcc_lo
	s_xor_b32 s7, exec_lo, s7
; %bb.286:
	v_bfe_u32 v1, v2, 16, 1
	s_delay_alu instid0(VALU_DEP_1)
	v_add3_u32 v1, v2, v1, 0x7fff
                                        ; implicit-def: $vgpr2
; %bb.287:
	s_and_not1_saveexec_b32 s7, s7
; %bb.288:
	v_and_b32_e32 v1, 0xffff, v2
	v_or_b32_e32 v3, 0x10000, v2
	s_delay_alu instid0(VALU_DEP_2) | instskip(NEXT) | instid1(VALU_DEP_2)
	v_cmp_eq_u32_e32 vcc_lo, 0, v1
	v_cndmask_b32_e32 v1, v3, v2, vcc_lo
; %bb.289:
	s_or_b32 exec_lo, exec_lo, s7
	scratch_load_b32 v2, off, off offset:104
	s_mov_b32 s7, exec_lo
                                        ; implicit-def: $vgpr9
	s_waitcnt vmcnt(0)
	v_and_b32_e32 v3, 0x7f800000, v2
	s_delay_alu instid0(VALU_DEP_1)
	v_cmpx_ne_u32_e32 0x7f800000, v3
	s_xor_b32 s7, exec_lo, s7
; %bb.290:
	v_bfe_u32 v3, v2, 16, 1
	s_delay_alu instid0(VALU_DEP_1)
	v_add3_u32 v9, v2, v3, 0x7fff
                                        ; implicit-def: $vgpr2
; %bb.291:
	s_and_not1_saveexec_b32 s7, s7
; %bb.292:
	v_and_b32_e32 v3, 0xffff, v2
	v_or_b32_e32 v4, 0x10000, v2
	s_delay_alu instid0(VALU_DEP_2) | instskip(NEXT) | instid1(VALU_DEP_2)
	v_cmp_eq_u32_e32 vcc_lo, 0, v3
	v_cndmask_b32_e32 v9, v4, v2, vcc_lo
; %bb.293:
	s_or_b32 exec_lo, exec_lo, s7
	scratch_load_b32 v2, off, off offset:108
	s_mov_b32 s7, exec_lo
                                        ; implicit-def: $vgpr12
	s_waitcnt vmcnt(0)
	v_and_b32_e32 v3, 0x7f800000, v2
	s_delay_alu instid0(VALU_DEP_1)
	v_cmpx_ne_u32_e32 0x7f800000, v3
	s_xor_b32 s7, exec_lo, s7
; %bb.294:
	v_bfe_u32 v3, v2, 16, 1
	s_delay_alu instid0(VALU_DEP_1)
	v_add3_u32 v12, v2, v3, 0x7fff
                                        ; implicit-def: $vgpr2
; %bb.295:
	s_and_not1_saveexec_b32 s7, s7
; %bb.296:
	v_and_b32_e32 v3, 0xffff, v2
	v_or_b32_e32 v4, 0x10000, v2
	s_delay_alu instid0(VALU_DEP_2) | instskip(NEXT) | instid1(VALU_DEP_2)
	v_cmp_eq_u32_e32 vcc_lo, 0, v3
	v_cndmask_b32_e32 v12, v4, v2, vcc_lo
; %bb.297:
	s_or_b32 exec_lo, exec_lo, s7
	s_ashr_i32 s7, s6, 31
	s_mul_hi_u32 s11, s2, s6
	s_mul_i32 s7, s2, s7
	s_mul_i32 s12, s3, s6
	s_add_i32 s7, s11, s7
	s_mul_i32 s6, s2, s6
	s_add_i32 s7, s7, s12
	v_and_b32_e32 v9, 0xffff0000, v9
	s_lshl_b64 s[6:7], s[6:7], 1
	v_and_b32_e32 v10, 0xffff0000, v1
	v_add_co_u32 v4, vcc_lo, v6, s6
	v_add_co_ci_u32_e32 v5, vcc_lo, s7, v7, vcc_lo
	v_and_b32_e32 v11, 0xffff0000, v0
	v_and_b32_e32 v12, 0xffff0000, v12
	s_mov_b32 s6, 0
	global_load_b64 v[2:3], v[4:5], off
	s_branch .LBB7_299
.LBB7_298:                              ;   in Loop: Header=BB7_299 Depth=1
	s_or_b32 exec_lo, exec_lo, s7
	v_lshrrev_b32_e32 v1, 16, v1
	s_delay_alu instid0(VALU_DEP_2) | instskip(SKIP_1) | instid1(VALU_DEP_2)
	v_and_b32_e32 v14, 0xffff0000, v15
	v_lshrrev_b32_e32 v0, 16, v0
	v_or_b32_e32 v1, v14, v1
	s_delay_alu instid0(VALU_DEP_2)
	v_and_or_b32 v0, 0xffff0000, v13, v0
	global_atomic_cmpswap_b64 v[0:1], v[4:5], v[0:3], off glc
	s_waitcnt vmcnt(0)
	v_cmp_eq_u64_e32 vcc_lo, v[0:1], v[2:3]
	v_dual_mov_b32 v3, v1 :: v_dual_mov_b32 v2, v0
	s_or_b32 s6, vcc_lo, s6
	s_delay_alu instid0(SALU_CYCLE_1)
	s_and_not1_b32 exec_lo, exec_lo, s6
	s_cbranch_execz .LBB7_315
.LBB7_299:                              ; =>This Inner Loop Header: Depth=1
	s_waitcnt vmcnt(0)
	v_lshlrev_b32_e32 v0, 16, v2
	s_delay_alu instid0(VALU_DEP_1) | instskip(NEXT) | instid1(VALU_DEP_1)
	v_add_f32_e32 v1, v11, v0
	v_and_b32_e32 v0, 0x7f800000, v1
	s_delay_alu instid0(VALU_DEP_1) | instskip(SKIP_1) | instid1(SALU_CYCLE_1)
	v_cmp_ne_u32_e32 vcc_lo, 0x7f800000, v0
                                        ; implicit-def: $vgpr0
	s_and_saveexec_b32 s7, vcc_lo
	s_xor_b32 s7, exec_lo, s7
; %bb.300:                              ;   in Loop: Header=BB7_299 Depth=1
	v_bfe_u32 v0, v1, 16, 1
	s_delay_alu instid0(VALU_DEP_1)
	v_add3_u32 v0, v1, v0, 0x7fff
                                        ; implicit-def: $vgpr1
; %bb.301:                              ;   in Loop: Header=BB7_299 Depth=1
	s_and_not1_saveexec_b32 s7, s7
; %bb.302:                              ;   in Loop: Header=BB7_299 Depth=1
	v_and_b32_e32 v0, 0xffff, v1
	v_or_b32_e32 v13, 0x10000, v1
	s_delay_alu instid0(VALU_DEP_2) | instskip(NEXT) | instid1(VALU_DEP_2)
	v_cmp_eq_u32_e32 vcc_lo, 0, v0
	v_cndmask_b32_e32 v0, v13, v1, vcc_lo
; %bb.303:                              ;   in Loop: Header=BB7_299 Depth=1
	s_or_b32 exec_lo, exec_lo, s7
	v_and_b32_e32 v1, 0xffff0000, v2
	s_delay_alu instid0(VALU_DEP_1) | instskip(NEXT) | instid1(VALU_DEP_1)
	v_add_f32_e32 v1, v10, v1
	v_and_b32_e32 v13, 0x7f800000, v1
	s_delay_alu instid0(VALU_DEP_1) | instskip(SKIP_1) | instid1(SALU_CYCLE_1)
	v_cmp_ne_u32_e32 vcc_lo, 0x7f800000, v13
                                        ; implicit-def: $vgpr13
	s_and_saveexec_b32 s7, vcc_lo
	s_xor_b32 s7, exec_lo, s7
; %bb.304:                              ;   in Loop: Header=BB7_299 Depth=1
	v_bfe_u32 v13, v1, 16, 1
	s_delay_alu instid0(VALU_DEP_1)
	v_add3_u32 v13, v1, v13, 0x7fff
                                        ; implicit-def: $vgpr1
; %bb.305:                              ;   in Loop: Header=BB7_299 Depth=1
	s_and_not1_saveexec_b32 s7, s7
; %bb.306:                              ;   in Loop: Header=BB7_299 Depth=1
	v_and_b32_e32 v13, 0xffff, v1
	v_or_b32_e32 v14, 0x10000, v1
	s_delay_alu instid0(VALU_DEP_2) | instskip(NEXT) | instid1(VALU_DEP_2)
	v_cmp_eq_u32_e32 vcc_lo, 0, v13
	v_cndmask_b32_e32 v13, v14, v1, vcc_lo
; %bb.307:                              ;   in Loop: Header=BB7_299 Depth=1
	s_or_b32 exec_lo, exec_lo, s7
	v_alignbit_b32 v1, v3, v2, 16
	s_delay_alu instid0(VALU_DEP_1) | instskip(NEXT) | instid1(VALU_DEP_1)
	v_and_b32_e32 v1, 0xffff0000, v1
	v_add_f32_e32 v14, v9, v1
	s_delay_alu instid0(VALU_DEP_1) | instskip(NEXT) | instid1(VALU_DEP_1)
	v_and_b32_e32 v1, 0x7f800000, v14
	v_cmp_ne_u32_e32 vcc_lo, 0x7f800000, v1
                                        ; implicit-def: $vgpr1
	s_and_saveexec_b32 s7, vcc_lo
	s_delay_alu instid0(SALU_CYCLE_1)
	s_xor_b32 s7, exec_lo, s7
; %bb.308:                              ;   in Loop: Header=BB7_299 Depth=1
	v_bfe_u32 v1, v14, 16, 1
	s_delay_alu instid0(VALU_DEP_1)
	v_add3_u32 v1, v14, v1, 0x7fff
                                        ; implicit-def: $vgpr14
; %bb.309:                              ;   in Loop: Header=BB7_299 Depth=1
	s_and_not1_saveexec_b32 s7, s7
; %bb.310:                              ;   in Loop: Header=BB7_299 Depth=1
	v_and_b32_e32 v1, 0xffff, v14
	v_or_b32_e32 v15, 0x10000, v14
	s_delay_alu instid0(VALU_DEP_2) | instskip(NEXT) | instid1(VALU_DEP_2)
	v_cmp_eq_u32_e32 vcc_lo, 0, v1
	v_cndmask_b32_e32 v1, v15, v14, vcc_lo
; %bb.311:                              ;   in Loop: Header=BB7_299 Depth=1
	s_or_b32 exec_lo, exec_lo, s7
	v_and_b32_e32 v14, 0xffff0000, v3
	s_delay_alu instid0(VALU_DEP_1) | instskip(NEXT) | instid1(VALU_DEP_1)
	v_add_f32_e32 v14, v12, v14
	v_and_b32_e32 v15, 0x7f800000, v14
	s_delay_alu instid0(VALU_DEP_1) | instskip(SKIP_1) | instid1(SALU_CYCLE_1)
	v_cmp_ne_u32_e32 vcc_lo, 0x7f800000, v15
                                        ; implicit-def: $vgpr15
	s_and_saveexec_b32 s7, vcc_lo
	s_xor_b32 s7, exec_lo, s7
; %bb.312:                              ;   in Loop: Header=BB7_299 Depth=1
	v_bfe_u32 v15, v14, 16, 1
	s_delay_alu instid0(VALU_DEP_1)
	v_add3_u32 v15, v14, v15, 0x7fff
                                        ; implicit-def: $vgpr14
; %bb.313:                              ;   in Loop: Header=BB7_299 Depth=1
	s_and_not1_saveexec_b32 s7, s7
	s_cbranch_execz .LBB7_298
; %bb.314:                              ;   in Loop: Header=BB7_299 Depth=1
	v_and_b32_e32 v15, 0xffff, v14
	v_or_b32_e32 v16, 0x10000, v14
	s_delay_alu instid0(VALU_DEP_2) | instskip(NEXT) | instid1(VALU_DEP_2)
	v_cmp_eq_u32_e32 vcc_lo, 0, v15
	v_cndmask_b32_e32 v15, v16, v14, vcc_lo
	s_branch .LBB7_298
.LBB7_315:
	s_or_b32 exec_lo, exec_lo, s6
.LBB7_316:
	s_load_b32 s0, s[0:1], 0x1c
	s_waitcnt lgkmcnt(0)
	s_abs_i32 s6, s0
	s_ashr_i32 s1, s0, 31
	s_mul_hi_u32 s7, s6, s10
	s_xor_b32 s8, s1, s8
	s_mul_i32 s10, s7, s9
	s_add_i32 s11, s7, 1
	s_sub_i32 s10, s6, s10
	s_delay_alu instid0(SALU_CYCLE_1)
	s_sub_i32 s12, s10, s9
	s_cmp_ge_u32 s10, s9
	s_cselect_b32 s7, s11, s7
	s_cselect_b32 s10, s12, s10
	s_add_i32 s11, s7, 1
	s_cmp_ge_u32 s10, s9
	s_cselect_b32 s7, s11, s7
	s_delay_alu instid0(SALU_CYCLE_1) | instskip(NEXT) | instid1(SALU_CYCLE_1)
	s_xor_b32 s7, s7, s8
	s_sub_i32 s7, s7, s8
	s_delay_alu instid0(SALU_CYCLE_1)
	s_cmp_ge_i32 s7, s4
	s_cbranch_scc1 .LBB7_355
; %bb.317:
	v_cmp_ne_u32_e32 vcc_lo, 1, v8
	s_cbranch_vccnz .LBB7_319
; %bb.318:
	scratch_load_b128 v[0:3], off, off offset:112
	s_lshl_b64 s[8:9], s[0:1], 2
	s_delay_alu instid0(SALU_CYCLE_1)
	s_add_u32 s8, s24, s8
	s_addc_u32 s9, s25, s9
	s_load_b32 s4, s[8:9], 0x0
	s_waitcnt vmcnt(0) lgkmcnt(0)
	v_dual_mul_f32 v0, s4, v0 :: v_dual_mul_f32 v1, s4, v1
	v_dual_mul_f32 v2, s4, v2 :: v_dual_mul_f32 v3, s4, v3
	scratch_store_b128 off, v[0:3], off offset:112
.LBB7_319:
	s_and_not1_b32 vcc_lo, exec_lo, s5
	s_cbranch_vccnz .LBB7_321
; %bb.320:
	s_abs_i32 s0, s29
	s_delay_alu instid0(SALU_CYCLE_1) | instskip(SKIP_1) | instid1(VALU_DEP_1)
	v_cvt_f32_u32_e32 v0, s0
	s_sub_i32 s5, 0, s0
	v_rcp_iflag_f32_e32 v0, v0
	s_waitcnt_depctr 0xfff
	v_mul_f32_e32 v0, 0x4f7ffffe, v0
	s_delay_alu instid0(VALU_DEP_1) | instskip(NEXT) | instid1(VALU_DEP_1)
	v_cvt_u32_f32_e32 v0, v0
	v_readfirstlane_b32 s4, v0
	s_delay_alu instid0(VALU_DEP_1) | instskip(NEXT) | instid1(SALU_CYCLE_1)
	s_mul_i32 s5, s5, s4
	s_mul_hi_u32 s5, s4, s5
	s_delay_alu instid0(SALU_CYCLE_1) | instskip(SKIP_4) | instid1(SALU_CYCLE_1)
	s_add_i32 s4, s4, s5
	s_ashr_i32 s5, s29, 31
	s_mul_hi_u32 s4, s6, s4
	s_xor_b32 s1, s1, s5
	s_mul_i32 s7, s4, s0
	s_sub_i32 s5, s6, s7
	s_add_i32 s6, s4, 1
	s_sub_i32 s7, s5, s0
	s_cmp_ge_u32 s5, s0
	s_cselect_b32 s4, s6, s4
	s_cselect_b32 s5, s7, s5
	s_add_i32 s6, s4, 1
	s_cmp_ge_u32 s5, s0
	s_cselect_b32 s0, s6, s4
	s_delay_alu instid0(SALU_CYCLE_1) | instskip(NEXT) | instid1(SALU_CYCLE_1)
	s_xor_b32 s0, s0, s1
	s_sub_i32 s0, s0, s1
.LBB7_321:
	scratch_load_b32 v1, off, off offset:112
	s_waitcnt vmcnt(0)
	v_and_b32_e32 v0, 0x7f800000, v1
	s_delay_alu instid0(VALU_DEP_1) | instskip(SKIP_1) | instid1(SALU_CYCLE_1)
	v_cmp_ne_u32_e32 vcc_lo, 0x7f800000, v0
                                        ; implicit-def: $vgpr0
	s_and_saveexec_b32 s1, vcc_lo
	s_xor_b32 s1, exec_lo, s1
; %bb.322:
	v_bfe_u32 v0, v1, 16, 1
	s_delay_alu instid0(VALU_DEP_1)
	v_add3_u32 v0, v1, v0, 0x7fff
                                        ; implicit-def: $vgpr1
; %bb.323:
	s_and_not1_saveexec_b32 s1, s1
; %bb.324:
	v_and_b32_e32 v0, 0xffff, v1
	v_or_b32_e32 v2, 0x10000, v1
	s_delay_alu instid0(VALU_DEP_2) | instskip(NEXT) | instid1(VALU_DEP_2)
	v_cmp_eq_u32_e32 vcc_lo, 0, v0
	v_cndmask_b32_e32 v0, v2, v1, vcc_lo
; %bb.325:
	s_or_b32 exec_lo, exec_lo, s1
	scratch_load_b32 v2, off, off offset:116
	s_waitcnt vmcnt(0)
	v_and_b32_e32 v1, 0x7f800000, v2
	s_delay_alu instid0(VALU_DEP_1) | instskip(SKIP_1) | instid1(SALU_CYCLE_1)
	v_cmp_ne_u32_e32 vcc_lo, 0x7f800000, v1
                                        ; implicit-def: $vgpr1
	s_and_saveexec_b32 s1, vcc_lo
	s_xor_b32 s1, exec_lo, s1
; %bb.326:
	v_bfe_u32 v1, v2, 16, 1
	s_delay_alu instid0(VALU_DEP_1)
	v_add3_u32 v1, v2, v1, 0x7fff
                                        ; implicit-def: $vgpr2
; %bb.327:
	s_and_not1_saveexec_b32 s1, s1
; %bb.328:
	v_and_b32_e32 v1, 0xffff, v2
	v_or_b32_e32 v3, 0x10000, v2
	s_delay_alu instid0(VALU_DEP_2) | instskip(NEXT) | instid1(VALU_DEP_2)
	v_cmp_eq_u32_e32 vcc_lo, 0, v1
	v_cndmask_b32_e32 v1, v3, v2, vcc_lo
; %bb.329:
	s_or_b32 exec_lo, exec_lo, s1
	scratch_load_b32 v2, off, off offset:120
	s_mov_b32 s1, exec_lo
                                        ; implicit-def: $vgpr8
	s_waitcnt vmcnt(0)
	v_and_b32_e32 v3, 0x7f800000, v2
	s_delay_alu instid0(VALU_DEP_1)
	v_cmpx_ne_u32_e32 0x7f800000, v3
	s_xor_b32 s1, exec_lo, s1
; %bb.330:
	v_bfe_u32 v3, v2, 16, 1
	s_delay_alu instid0(VALU_DEP_1)
	v_add3_u32 v8, v2, v3, 0x7fff
                                        ; implicit-def: $vgpr2
; %bb.331:
	s_and_not1_saveexec_b32 s1, s1
; %bb.332:
	v_and_b32_e32 v3, 0xffff, v2
	v_or_b32_e32 v4, 0x10000, v2
	s_delay_alu instid0(VALU_DEP_2) | instskip(NEXT) | instid1(VALU_DEP_2)
	v_cmp_eq_u32_e32 vcc_lo, 0, v3
	v_cndmask_b32_e32 v8, v4, v2, vcc_lo
; %bb.333:
	s_or_b32 exec_lo, exec_lo, s1
	scratch_load_b32 v2, off, off offset:124
	s_mov_b32 s1, exec_lo
                                        ; implicit-def: $vgpr9
	s_waitcnt vmcnt(0)
	v_and_b32_e32 v3, 0x7f800000, v2
	s_delay_alu instid0(VALU_DEP_1)
	v_cmpx_ne_u32_e32 0x7f800000, v3
	s_xor_b32 s1, exec_lo, s1
; %bb.334:
	v_bfe_u32 v3, v2, 16, 1
	s_delay_alu instid0(VALU_DEP_1)
	v_add3_u32 v9, v2, v3, 0x7fff
                                        ; implicit-def: $vgpr2
; %bb.335:
	s_and_not1_saveexec_b32 s1, s1
; %bb.336:
	v_and_b32_e32 v3, 0xffff, v2
	v_or_b32_e32 v4, 0x10000, v2
	s_delay_alu instid0(VALU_DEP_2) | instskip(NEXT) | instid1(VALU_DEP_2)
	v_cmp_eq_u32_e32 vcc_lo, 0, v3
	v_cndmask_b32_e32 v9, v4, v2, vcc_lo
; %bb.337:
	s_or_b32 exec_lo, exec_lo, s1
	s_ashr_i32 s1, s0, 31
	s_mul_hi_u32 s4, s2, s0
	s_mul_i32 s1, s2, s1
	s_mul_i32 s3, s3, s0
	s_add_i32 s1, s4, s1
	s_mul_i32 s0, s2, s0
	s_add_i32 s1, s1, s3
	v_and_b32_e32 v9, 0xffff0000, v9
	s_lshl_b64 s[0:1], s[0:1], 1
	s_delay_alu instid0(SALU_CYCLE_1)
	v_add_co_u32 v4, vcc_lo, v6, s0
	v_add_co_ci_u32_e32 v5, vcc_lo, s1, v7, vcc_lo
	v_and_b32_e32 v6, 0xffff0000, v8
	v_and_b32_e32 v7, 0xffff0000, v1
	;; [unrolled: 1-line block ×3, first 2 shown]
	global_load_b64 v[2:3], v[4:5], off
	s_mov_b32 s0, 0
	s_branch .LBB7_339
.LBB7_338:                              ;   in Loop: Header=BB7_339 Depth=1
	s_or_b32 exec_lo, exec_lo, s1
	v_lshrrev_b32_e32 v1, 16, v1
	s_delay_alu instid0(VALU_DEP_2) | instskip(SKIP_1) | instid1(VALU_DEP_2)
	v_and_b32_e32 v11, 0xffff0000, v12
	v_lshrrev_b32_e32 v0, 16, v0
	v_or_b32_e32 v1, v11, v1
	s_delay_alu instid0(VALU_DEP_2)
	v_and_or_b32 v0, 0xffff0000, v10, v0
	global_atomic_cmpswap_b64 v[0:1], v[4:5], v[0:3], off glc
	s_waitcnt vmcnt(0)
	v_cmp_eq_u64_e32 vcc_lo, v[0:1], v[2:3]
	v_dual_mov_b32 v3, v1 :: v_dual_mov_b32 v2, v0
	s_or_b32 s0, vcc_lo, s0
	s_delay_alu instid0(SALU_CYCLE_1)
	s_and_not1_b32 exec_lo, exec_lo, s0
	s_cbranch_execz .LBB7_355
.LBB7_339:                              ; =>This Inner Loop Header: Depth=1
	s_waitcnt vmcnt(0)
	v_lshlrev_b32_e32 v0, 16, v2
	s_delay_alu instid0(VALU_DEP_1) | instskip(NEXT) | instid1(VALU_DEP_1)
	v_add_f32_e32 v1, v8, v0
	v_and_b32_e32 v0, 0x7f800000, v1
	s_delay_alu instid0(VALU_DEP_1) | instskip(SKIP_1) | instid1(SALU_CYCLE_1)
	v_cmp_ne_u32_e32 vcc_lo, 0x7f800000, v0
                                        ; implicit-def: $vgpr0
	s_and_saveexec_b32 s1, vcc_lo
	s_xor_b32 s1, exec_lo, s1
; %bb.340:                              ;   in Loop: Header=BB7_339 Depth=1
	v_bfe_u32 v0, v1, 16, 1
	s_delay_alu instid0(VALU_DEP_1)
	v_add3_u32 v0, v1, v0, 0x7fff
                                        ; implicit-def: $vgpr1
; %bb.341:                              ;   in Loop: Header=BB7_339 Depth=1
	s_and_not1_saveexec_b32 s1, s1
; %bb.342:                              ;   in Loop: Header=BB7_339 Depth=1
	v_and_b32_e32 v0, 0xffff, v1
	v_or_b32_e32 v10, 0x10000, v1
	s_delay_alu instid0(VALU_DEP_2) | instskip(NEXT) | instid1(VALU_DEP_2)
	v_cmp_eq_u32_e32 vcc_lo, 0, v0
	v_cndmask_b32_e32 v0, v10, v1, vcc_lo
; %bb.343:                              ;   in Loop: Header=BB7_339 Depth=1
	s_or_b32 exec_lo, exec_lo, s1
	v_and_b32_e32 v1, 0xffff0000, v2
	s_delay_alu instid0(VALU_DEP_1) | instskip(NEXT) | instid1(VALU_DEP_1)
	v_add_f32_e32 v1, v7, v1
	v_and_b32_e32 v10, 0x7f800000, v1
	s_delay_alu instid0(VALU_DEP_1) | instskip(SKIP_1) | instid1(SALU_CYCLE_1)
	v_cmp_ne_u32_e32 vcc_lo, 0x7f800000, v10
                                        ; implicit-def: $vgpr10
	s_and_saveexec_b32 s1, vcc_lo
	s_xor_b32 s1, exec_lo, s1
; %bb.344:                              ;   in Loop: Header=BB7_339 Depth=1
	v_bfe_u32 v10, v1, 16, 1
	s_delay_alu instid0(VALU_DEP_1)
	v_add3_u32 v10, v1, v10, 0x7fff
                                        ; implicit-def: $vgpr1
; %bb.345:                              ;   in Loop: Header=BB7_339 Depth=1
	s_and_not1_saveexec_b32 s1, s1
; %bb.346:                              ;   in Loop: Header=BB7_339 Depth=1
	v_and_b32_e32 v10, 0xffff, v1
	v_or_b32_e32 v11, 0x10000, v1
	s_delay_alu instid0(VALU_DEP_2) | instskip(NEXT) | instid1(VALU_DEP_2)
	v_cmp_eq_u32_e32 vcc_lo, 0, v10
	v_cndmask_b32_e32 v10, v11, v1, vcc_lo
; %bb.347:                              ;   in Loop: Header=BB7_339 Depth=1
	s_or_b32 exec_lo, exec_lo, s1
	v_alignbit_b32 v1, v3, v2, 16
	s_delay_alu instid0(VALU_DEP_1) | instskip(NEXT) | instid1(VALU_DEP_1)
	v_and_b32_e32 v1, 0xffff0000, v1
	v_add_f32_e32 v11, v6, v1
	s_delay_alu instid0(VALU_DEP_1) | instskip(NEXT) | instid1(VALU_DEP_1)
	v_and_b32_e32 v1, 0x7f800000, v11
	v_cmp_ne_u32_e32 vcc_lo, 0x7f800000, v1
                                        ; implicit-def: $vgpr1
	s_and_saveexec_b32 s1, vcc_lo
	s_delay_alu instid0(SALU_CYCLE_1)
	s_xor_b32 s1, exec_lo, s1
; %bb.348:                              ;   in Loop: Header=BB7_339 Depth=1
	v_bfe_u32 v1, v11, 16, 1
	s_delay_alu instid0(VALU_DEP_1)
	v_add3_u32 v1, v11, v1, 0x7fff
                                        ; implicit-def: $vgpr11
; %bb.349:                              ;   in Loop: Header=BB7_339 Depth=1
	s_and_not1_saveexec_b32 s1, s1
; %bb.350:                              ;   in Loop: Header=BB7_339 Depth=1
	v_and_b32_e32 v1, 0xffff, v11
	v_or_b32_e32 v12, 0x10000, v11
	s_delay_alu instid0(VALU_DEP_2) | instskip(NEXT) | instid1(VALU_DEP_2)
	v_cmp_eq_u32_e32 vcc_lo, 0, v1
	v_cndmask_b32_e32 v1, v12, v11, vcc_lo
; %bb.351:                              ;   in Loop: Header=BB7_339 Depth=1
	s_or_b32 exec_lo, exec_lo, s1
	v_and_b32_e32 v11, 0xffff0000, v3
	s_delay_alu instid0(VALU_DEP_1) | instskip(NEXT) | instid1(VALU_DEP_1)
	v_add_f32_e32 v11, v9, v11
	v_and_b32_e32 v12, 0x7f800000, v11
	s_delay_alu instid0(VALU_DEP_1) | instskip(SKIP_1) | instid1(SALU_CYCLE_1)
	v_cmp_ne_u32_e32 vcc_lo, 0x7f800000, v12
                                        ; implicit-def: $vgpr12
	s_and_saveexec_b32 s1, vcc_lo
	s_xor_b32 s1, exec_lo, s1
; %bb.352:                              ;   in Loop: Header=BB7_339 Depth=1
	v_bfe_u32 v12, v11, 16, 1
	s_delay_alu instid0(VALU_DEP_1)
	v_add3_u32 v12, v11, v12, 0x7fff
                                        ; implicit-def: $vgpr11
; %bb.353:                              ;   in Loop: Header=BB7_339 Depth=1
	s_and_not1_saveexec_b32 s1, s1
	s_cbranch_execz .LBB7_338
; %bb.354:                              ;   in Loop: Header=BB7_339 Depth=1
	v_and_b32_e32 v12, 0xffff, v11
	v_or_b32_e32 v13, 0x10000, v11
	s_delay_alu instid0(VALU_DEP_2) | instskip(NEXT) | instid1(VALU_DEP_2)
	v_cmp_eq_u32_e32 vcc_lo, 0, v12
	v_cndmask_b32_e32 v12, v13, v11, vcc_lo
	s_branch .LBB7_338
.LBB7_355:
	s_endpgm
	.section	.rodata,"a",@progbits
	.p2align	6, 0x0
	.amdhsa_kernel _ZN4vllm14moe_gptq_rdna324moe_gemm_q4_kernel_rdna3I14__hip_bfloat16Li8EEEvPKT_PS3_PKjS5_S8_PKfPKiSC_SC_iiiiiiiibi
		.amdhsa_group_segment_fixed_size 20608
		.amdhsa_private_segment_fixed_size 144
		.amdhsa_kernarg_size 112
		.amdhsa_user_sgpr_count 13
		.amdhsa_user_sgpr_dispatch_ptr 1
		.amdhsa_user_sgpr_queue_ptr 0
		.amdhsa_user_sgpr_kernarg_segment_ptr 1
		.amdhsa_user_sgpr_dispatch_id 0
		.amdhsa_user_sgpr_private_segment_size 0
		.amdhsa_wavefront_size32 1
		.amdhsa_uses_dynamic_stack 0
		.amdhsa_enable_private_segment 1
		.amdhsa_system_sgpr_workgroup_id_x 1
		.amdhsa_system_sgpr_workgroup_id_y 1
		.amdhsa_system_sgpr_workgroup_id_z 1
		.amdhsa_system_sgpr_workgroup_info 0
		.amdhsa_system_vgpr_workitem_id 2
		.amdhsa_next_free_vgpr 82
		.amdhsa_next_free_sgpr 43
		.amdhsa_reserve_vcc 1
		.amdhsa_float_round_mode_32 0
		.amdhsa_float_round_mode_16_64 0
		.amdhsa_float_denorm_mode_32 3
		.amdhsa_float_denorm_mode_16_64 3
		.amdhsa_dx10_clamp 1
		.amdhsa_ieee_mode 1
		.amdhsa_fp16_overflow 0
		.amdhsa_workgroup_processor_mode 1
		.amdhsa_memory_ordered 1
		.amdhsa_forward_progress 0
		.amdhsa_shared_vgpr_count 0
		.amdhsa_exception_fp_ieee_invalid_op 0
		.amdhsa_exception_fp_denorm_src 0
		.amdhsa_exception_fp_ieee_div_zero 0
		.amdhsa_exception_fp_ieee_overflow 0
		.amdhsa_exception_fp_ieee_underflow 0
		.amdhsa_exception_fp_ieee_inexact 0
		.amdhsa_exception_int_div_zero 0
	.end_amdhsa_kernel
	.section	.text._ZN4vllm14moe_gptq_rdna324moe_gemm_q4_kernel_rdna3I14__hip_bfloat16Li8EEEvPKT_PS3_PKjS5_S8_PKfPKiSC_SC_iiiiiiiibi,"axG",@progbits,_ZN4vllm14moe_gptq_rdna324moe_gemm_q4_kernel_rdna3I14__hip_bfloat16Li8EEEvPKT_PS3_PKjS5_S8_PKfPKiSC_SC_iiiiiiiibi,comdat
.Lfunc_end7:
	.size	_ZN4vllm14moe_gptq_rdna324moe_gemm_q4_kernel_rdna3I14__hip_bfloat16Li8EEEvPKT_PS3_PKjS5_S8_PKfPKiSC_SC_iiiiiiiibi, .Lfunc_end7-_ZN4vllm14moe_gptq_rdna324moe_gemm_q4_kernel_rdna3I14__hip_bfloat16Li8EEEvPKT_PS3_PKjS5_S8_PKfPKiSC_SC_iiiiiiiibi
                                        ; -- End function
	.section	.AMDGPU.csdata,"",@progbits
; Kernel info:
; codeLenInByte = 18304
; NumSgprs: 45
; NumVgprs: 82
; ScratchSize: 144
; MemoryBound: 0
; FloatMode: 240
; IeeeMode: 1
; LDSByteSize: 20608 bytes/workgroup (compile time only)
; SGPRBlocks: 5
; VGPRBlocks: 10
; NumSGPRsForWavesPerEU: 45
; NumVGPRsForWavesPerEU: 82
; Occupancy: 16
; WaveLimiterHint : 1
; COMPUTE_PGM_RSRC2:SCRATCH_EN: 1
; COMPUTE_PGM_RSRC2:USER_SGPR: 13
; COMPUTE_PGM_RSRC2:TRAP_HANDLER: 0
; COMPUTE_PGM_RSRC2:TGID_X_EN: 1
; COMPUTE_PGM_RSRC2:TGID_Y_EN: 1
; COMPUTE_PGM_RSRC2:TGID_Z_EN: 1
; COMPUTE_PGM_RSRC2:TIDIG_COMP_CNT: 2
	.text
	.p2alignl 7, 3214868480
	.fill 96, 4, 3214868480
	.type	__hip_cuid_9b74c34838f46c9f,@object ; @__hip_cuid_9b74c34838f46c9f
	.section	.bss,"aw",@nobits
	.globl	__hip_cuid_9b74c34838f46c9f
__hip_cuid_9b74c34838f46c9f:
	.byte	0                               ; 0x0
	.size	__hip_cuid_9b74c34838f46c9f, 1

	.ident	"AMD clang version 19.0.0git (https://github.com/RadeonOpenCompute/llvm-project roc-6.4.0 25133 c7fe45cf4b819c5991fe208aaa96edf142730f1d)"
	.section	".note.GNU-stack","",@progbits
	.addrsig
	.addrsig_sym __hip_cuid_9b74c34838f46c9f
	.amdgpu_metadata
---
amdhsa.kernels:
  - .args:
      - .actual_access:  read_only
        .address_space:  global
        .offset:         0
        .size:           8
        .value_kind:     global_buffer
      - .address_space:  global
        .offset:         8
        .size:           8
        .value_kind:     global_buffer
      - .actual_access:  read_only
        .address_space:  global
        .offset:         16
        .size:           8
        .value_kind:     global_buffer
      - .actual_access:  read_only
        .address_space:  global
        .offset:         24
        .size:           8
        .value_kind:     global_buffer
      - .actual_access:  read_only
        .address_space:  global
        .offset:         32
        .size:           8
        .value_kind:     global_buffer
      - .actual_access:  read_only
        .address_space:  global
        .offset:         40
        .size:           8
        .value_kind:     global_buffer
      - .actual_access:  read_only
        .address_space:  global
        .offset:         48
        .size:           8
        .value_kind:     global_buffer
      - .actual_access:  read_only
        .address_space:  global
        .offset:         56
        .size:           8
        .value_kind:     global_buffer
      - .actual_access:  read_only
        .address_space:  global
        .offset:         64
        .size:           8
        .value_kind:     global_buffer
      - .offset:         72
        .size:           4
        .value_kind:     by_value
      - .offset:         76
        .size:           4
        .value_kind:     by_value
      - .offset:         80
        .size:           4
        .value_kind:     by_value
      - .offset:         84
        .size:           4
        .value_kind:     by_value
      - .offset:         88
        .size:           4
        .value_kind:     by_value
      - .offset:         92
        .size:           4
        .value_kind:     by_value
      - .offset:         96
        .size:           4
        .value_kind:     by_value
      - .offset:         100
        .size:           4
        .value_kind:     by_value
      - .offset:         104
        .size:           1
        .value_kind:     by_value
      - .offset:         108
        .size:           4
        .value_kind:     by_value
    .group_segment_fixed_size: 528
    .kernarg_segment_align: 8
    .kernarg_segment_size: 112
    .language:       OpenCL C
    .language_version:
      - 2
      - 0
    .max_flat_workgroup_size: 1024
    .name:           _ZN4vllm14moe_gptq_rdna324moe_gemm_q4_kernel_rdna3I6__halfLi1EEEvPKT_PS3_PKjS5_S8_PKfPKiSC_SC_iiiiiiiibi
    .private_segment_fixed_size: 0
    .sgpr_count:     40
    .sgpr_spill_count: 0
    .symbol:         _ZN4vllm14moe_gptq_rdna324moe_gemm_q4_kernel_rdna3I6__halfLi1EEEvPKT_PS3_PKjS5_S8_PKfPKiSC_SC_iiiiiiiibi.kd
    .uniform_work_group_size: 1
    .uses_dynamic_stack: false
    .vgpr_count:     98
    .vgpr_spill_count: 0
    .wavefront_size: 32
    .workgroup_processor_mode: 1
  - .args:
      - .actual_access:  read_only
        .address_space:  global
        .offset:         0
        .size:           8
        .value_kind:     global_buffer
      - .address_space:  global
        .offset:         8
        .size:           8
        .value_kind:     global_buffer
      - .actual_access:  read_only
        .address_space:  global
        .offset:         16
        .size:           8
        .value_kind:     global_buffer
      - .actual_access:  read_only
        .address_space:  global
        .offset:         24
        .size:           8
        .value_kind:     global_buffer
      - .actual_access:  read_only
        .address_space:  global
        .offset:         32
        .size:           8
        .value_kind:     global_buffer
      - .actual_access:  read_only
        .address_space:  global
        .offset:         40
        .size:           8
        .value_kind:     global_buffer
      - .actual_access:  read_only
        .address_space:  global
        .offset:         48
        .size:           8
        .value_kind:     global_buffer
      - .actual_access:  read_only
        .address_space:  global
        .offset:         56
        .size:           8
        .value_kind:     global_buffer
      - .actual_access:  read_only
        .address_space:  global
        .offset:         64
        .size:           8
        .value_kind:     global_buffer
      - .offset:         72
        .size:           4
        .value_kind:     by_value
      - .offset:         76
        .size:           4
        .value_kind:     by_value
      - .offset:         80
        .size:           4
        .value_kind:     by_value
      - .offset:         84
        .size:           4
        .value_kind:     by_value
      - .offset:         88
        .size:           4
        .value_kind:     by_value
      - .offset:         92
        .size:           4
        .value_kind:     by_value
      - .offset:         96
        .size:           4
        .value_kind:     by_value
      - .offset:         100
        .size:           4
        .value_kind:     by_value
      - .offset:         104
        .size:           1
        .value_kind:     by_value
      - .offset:         108
        .size:           4
        .value_kind:     by_value
    .group_segment_fixed_size: 1056
    .kernarg_segment_align: 8
    .kernarg_segment_size: 112
    .language:       OpenCL C
    .language_version:
      - 2
      - 0
    .max_flat_workgroup_size: 1024
    .name:           _ZN4vllm14moe_gptq_rdna324moe_gemm_q4_kernel_rdna3I6__halfLi2EEEvPKT_PS3_PKjS5_S8_PKfPKiSC_SC_iiiiiiiibi
    .private_segment_fixed_size: 0
    .sgpr_count:     43
    .sgpr_spill_count: 0
    .symbol:         _ZN4vllm14moe_gptq_rdna324moe_gemm_q4_kernel_rdna3I6__halfLi2EEEvPKT_PS3_PKjS5_S8_PKfPKiSC_SC_iiiiiiiibi.kd
    .uniform_work_group_size: 1
    .uses_dynamic_stack: false
    .vgpr_count:     110
    .vgpr_spill_count: 0
    .wavefront_size: 32
    .workgroup_processor_mode: 1
  - .args:
      - .actual_access:  read_only
        .address_space:  global
        .offset:         0
        .size:           8
        .value_kind:     global_buffer
      - .address_space:  global
        .offset:         8
        .size:           8
        .value_kind:     global_buffer
      - .actual_access:  read_only
        .address_space:  global
        .offset:         16
        .size:           8
        .value_kind:     global_buffer
      - .actual_access:  read_only
        .address_space:  global
        .offset:         24
        .size:           8
        .value_kind:     global_buffer
      - .actual_access:  read_only
        .address_space:  global
        .offset:         32
        .size:           8
        .value_kind:     global_buffer
      - .actual_access:  read_only
        .address_space:  global
        .offset:         40
        .size:           8
        .value_kind:     global_buffer
      - .actual_access:  read_only
        .address_space:  global
        .offset:         48
        .size:           8
        .value_kind:     global_buffer
      - .actual_access:  read_only
        .address_space:  global
        .offset:         56
        .size:           8
        .value_kind:     global_buffer
      - .actual_access:  read_only
        .address_space:  global
        .offset:         64
        .size:           8
        .value_kind:     global_buffer
      - .offset:         72
        .size:           4
        .value_kind:     by_value
      - .offset:         76
        .size:           4
        .value_kind:     by_value
      - .offset:         80
        .size:           4
        .value_kind:     by_value
      - .offset:         84
        .size:           4
        .value_kind:     by_value
      - .offset:         88
        .size:           4
        .value_kind:     by_value
      - .offset:         92
        .size:           4
        .value_kind:     by_value
      - .offset:         96
        .size:           4
        .value_kind:     by_value
      - .offset:         100
        .size:           4
        .value_kind:     by_value
      - .offset:         104
        .size:           1
        .value_kind:     by_value
      - .offset:         108
        .size:           4
        .value_kind:     by_value
    .group_segment_fixed_size: 2112
    .kernarg_segment_align: 8
    .kernarg_segment_size: 112
    .language:       OpenCL C
    .language_version:
      - 2
      - 0
    .max_flat_workgroup_size: 1024
    .name:           _ZN4vllm14moe_gptq_rdna324moe_gemm_q4_kernel_rdna3I6__halfLi4EEEvPKT_PS3_PKjS5_S8_PKfPKiSC_SC_iiiiiiiibi
    .private_segment_fixed_size: 0
    .sgpr_count:     43
    .sgpr_spill_count: 0
    .symbol:         _ZN4vllm14moe_gptq_rdna324moe_gemm_q4_kernel_rdna3I6__halfLi4EEEvPKT_PS3_PKjS5_S8_PKfPKiSC_SC_iiiiiiiibi.kd
    .uniform_work_group_size: 1
    .uses_dynamic_stack: false
    .vgpr_count:     107
    .vgpr_spill_count: 0
    .wavefront_size: 32
    .workgroup_processor_mode: 1
  - .args:
      - .actual_access:  read_only
        .address_space:  global
        .offset:         0
        .size:           8
        .value_kind:     global_buffer
      - .address_space:  global
        .offset:         8
        .size:           8
        .value_kind:     global_buffer
      - .actual_access:  read_only
        .address_space:  global
        .offset:         16
        .size:           8
        .value_kind:     global_buffer
      - .actual_access:  read_only
        .address_space:  global
        .offset:         24
        .size:           8
        .value_kind:     global_buffer
      - .actual_access:  read_only
        .address_space:  global
        .offset:         32
        .size:           8
        .value_kind:     global_buffer
      - .actual_access:  read_only
        .address_space:  global
        .offset:         40
        .size:           8
        .value_kind:     global_buffer
      - .actual_access:  read_only
        .address_space:  global
        .offset:         48
        .size:           8
        .value_kind:     global_buffer
      - .actual_access:  read_only
        .address_space:  global
        .offset:         56
        .size:           8
        .value_kind:     global_buffer
      - .actual_access:  read_only
        .address_space:  global
        .offset:         64
        .size:           8
        .value_kind:     global_buffer
      - .offset:         72
        .size:           4
        .value_kind:     by_value
      - .offset:         76
        .size:           4
        .value_kind:     by_value
      - .offset:         80
        .size:           4
        .value_kind:     by_value
      - .offset:         84
        .size:           4
        .value_kind:     by_value
      - .offset:         88
        .size:           4
        .value_kind:     by_value
      - .offset:         92
        .size:           4
        .value_kind:     by_value
      - .offset:         96
        .size:           4
        .value_kind:     by_value
      - .offset:         100
        .size:           4
        .value_kind:     by_value
      - .offset:         104
        .size:           1
        .value_kind:     by_value
      - .offset:         108
        .size:           4
        .value_kind:     by_value
    .group_segment_fixed_size: 4224
    .kernarg_segment_align: 8
    .kernarg_segment_size: 112
    .language:       OpenCL C
    .language_version:
      - 2
      - 0
    .max_flat_workgroup_size: 1024
    .name:           _ZN4vllm14moe_gptq_rdna324moe_gemm_q4_kernel_rdna3I6__halfLi8EEEvPKT_PS3_PKjS5_S8_PKfPKiSC_SC_iiiiiiiibi
    .private_segment_fixed_size: 0
    .sgpr_count:     43
    .sgpr_spill_count: 0
    .symbol:         _ZN4vllm14moe_gptq_rdna324moe_gemm_q4_kernel_rdna3I6__halfLi8EEEvPKT_PS3_PKjS5_S8_PKfPKiSC_SC_iiiiiiiibi.kd
    .uniform_work_group_size: 1
    .uses_dynamic_stack: false
    .vgpr_count:     126
    .vgpr_spill_count: 0
    .wavefront_size: 32
    .workgroup_processor_mode: 1
  - .args:
      - .actual_access:  read_only
        .address_space:  global
        .offset:         0
        .size:           8
        .value_kind:     global_buffer
      - .address_space:  global
        .offset:         8
        .size:           8
        .value_kind:     global_buffer
      - .actual_access:  read_only
        .address_space:  global
        .offset:         16
        .size:           8
        .value_kind:     global_buffer
      - .actual_access:  read_only
        .address_space:  global
        .offset:         24
        .size:           8
        .value_kind:     global_buffer
      - .actual_access:  read_only
        .address_space:  global
        .offset:         32
        .size:           8
        .value_kind:     global_buffer
      - .actual_access:  read_only
        .address_space:  global
        .offset:         40
        .size:           8
        .value_kind:     global_buffer
      - .actual_access:  read_only
        .address_space:  global
        .offset:         48
        .size:           8
        .value_kind:     global_buffer
      - .actual_access:  read_only
        .address_space:  global
        .offset:         56
        .size:           8
        .value_kind:     global_buffer
      - .actual_access:  read_only
        .address_space:  global
        .offset:         64
        .size:           8
        .value_kind:     global_buffer
      - .offset:         72
        .size:           4
        .value_kind:     by_value
      - .offset:         76
        .size:           4
        .value_kind:     by_value
      - .offset:         80
        .size:           4
        .value_kind:     by_value
      - .offset:         84
        .size:           4
        .value_kind:     by_value
      - .offset:         88
        .size:           4
        .value_kind:     by_value
      - .offset:         92
        .size:           4
        .value_kind:     by_value
      - .offset:         96
        .size:           4
        .value_kind:     by_value
      - .offset:         100
        .size:           4
        .value_kind:     by_value
      - .offset:         104
        .size:           1
        .value_kind:     by_value
      - .offset:         108
        .size:           4
        .value_kind:     by_value
    .group_segment_fixed_size: 32768
    .kernarg_segment_align: 8
    .kernarg_segment_size: 112
    .language:       OpenCL C
    .language_version:
      - 2
      - 0
    .max_flat_workgroup_size: 1024
    .name:           _ZN4vllm14moe_gptq_rdna324moe_gemm_q4_kernel_rdna3I14__hip_bfloat16Li1EEEvPKT_PS3_PKjS5_S8_PKfPKiSC_SC_iiiiiiiibi
    .private_segment_fixed_size: 0
    .sgpr_count:     41
    .sgpr_spill_count: 0
    .symbol:         _ZN4vllm14moe_gptq_rdna324moe_gemm_q4_kernel_rdna3I14__hip_bfloat16Li1EEEvPKT_PS3_PKjS5_S8_PKfPKiSC_SC_iiiiiiiibi.kd
    .uniform_work_group_size: 1
    .uses_dynamic_stack: false
    .vgpr_count:     29
    .vgpr_spill_count: 0
    .wavefront_size: 32
    .workgroup_processor_mode: 1
  - .args:
      - .actual_access:  read_only
        .address_space:  global
        .offset:         0
        .size:           8
        .value_kind:     global_buffer
      - .address_space:  global
        .offset:         8
        .size:           8
        .value_kind:     global_buffer
      - .actual_access:  read_only
        .address_space:  global
        .offset:         16
        .size:           8
        .value_kind:     global_buffer
      - .actual_access:  read_only
        .address_space:  global
        .offset:         24
        .size:           8
        .value_kind:     global_buffer
      - .actual_access:  read_only
        .address_space:  global
        .offset:         32
        .size:           8
        .value_kind:     global_buffer
      - .actual_access:  read_only
        .address_space:  global
        .offset:         40
        .size:           8
        .value_kind:     global_buffer
      - .actual_access:  read_only
        .address_space:  global
        .offset:         48
        .size:           8
        .value_kind:     global_buffer
      - .actual_access:  read_only
        .address_space:  global
        .offset:         56
        .size:           8
        .value_kind:     global_buffer
      - .actual_access:  read_only
        .address_space:  global
        .offset:         64
        .size:           8
        .value_kind:     global_buffer
      - .offset:         72
        .size:           4
        .value_kind:     by_value
      - .offset:         76
        .size:           4
        .value_kind:     by_value
      - .offset:         80
        .size:           4
        .value_kind:     by_value
      - .offset:         84
        .size:           4
        .value_kind:     by_value
      - .offset:         88
        .size:           4
        .value_kind:     by_value
      - .offset:         92
        .size:           4
        .value_kind:     by_value
      - .offset:         96
        .size:           4
        .value_kind:     by_value
      - .offset:         100
        .size:           4
        .value_kind:     by_value
      - .offset:         104
        .size:           1
        .value_kind:     by_value
      - .offset:         108
        .size:           4
        .value_kind:     by_value
    .group_segment_fixed_size: 50208
    .kernarg_segment_align: 8
    .kernarg_segment_size: 112
    .language:       OpenCL C
    .language_version:
      - 2
      - 0
    .max_flat_workgroup_size: 1024
    .name:           _ZN4vllm14moe_gptq_rdna324moe_gemm_q4_kernel_rdna3I14__hip_bfloat16Li2EEEvPKT_PS3_PKjS5_S8_PKfPKiSC_SC_iiiiiiiibi
    .private_segment_fixed_size: 0
    .sgpr_count:     45
    .sgpr_spill_count: 0
    .symbol:         _ZN4vllm14moe_gptq_rdna324moe_gemm_q4_kernel_rdna3I14__hip_bfloat16Li2EEEvPKT_PS3_PKjS5_S8_PKfPKiSC_SC_iiiiiiiibi.kd
    .uniform_work_group_size: 1
    .uses_dynamic_stack: false
    .vgpr_count:     42
    .vgpr_spill_count: 0
    .wavefront_size: 32
    .workgroup_processor_mode: 1
  - .args:
      - .actual_access:  read_only
        .address_space:  global
        .offset:         0
        .size:           8
        .value_kind:     global_buffer
      - .address_space:  global
        .offset:         8
        .size:           8
        .value_kind:     global_buffer
      - .actual_access:  read_only
        .address_space:  global
        .offset:         16
        .size:           8
        .value_kind:     global_buffer
      - .actual_access:  read_only
        .address_space:  global
        .offset:         24
        .size:           8
        .value_kind:     global_buffer
      - .actual_access:  read_only
        .address_space:  global
        .offset:         32
        .size:           8
        .value_kind:     global_buffer
      - .actual_access:  read_only
        .address_space:  global
        .offset:         40
        .size:           8
        .value_kind:     global_buffer
      - .actual_access:  read_only
        .address_space:  global
        .offset:         48
        .size:           8
        .value_kind:     global_buffer
      - .actual_access:  read_only
        .address_space:  global
        .offset:         56
        .size:           8
        .value_kind:     global_buffer
      - .actual_access:  read_only
        .address_space:  global
        .offset:         64
        .size:           8
        .value_kind:     global_buffer
      - .offset:         72
        .size:           4
        .value_kind:     by_value
      - .offset:         76
        .size:           4
        .value_kind:     by_value
      - .offset:         80
        .size:           4
        .value_kind:     by_value
      - .offset:         84
        .size:           4
        .value_kind:     by_value
      - .offset:         88
        .size:           4
        .value_kind:     by_value
      - .offset:         92
        .size:           4
        .value_kind:     by_value
      - .offset:         96
        .size:           4
        .value_kind:     by_value
      - .offset:         100
        .size:           4
        .value_kind:     by_value
      - .offset:         104
        .size:           1
        .value_kind:     by_value
      - .offset:         108
        .size:           4
        .value_kind:     by_value
    .group_segment_fixed_size: 18496
    .kernarg_segment_align: 8
    .kernarg_segment_size: 112
    .language:       OpenCL C
    .language_version:
      - 2
      - 0
    .max_flat_workgroup_size: 1024
    .name:           _ZN4vllm14moe_gptq_rdna324moe_gemm_q4_kernel_rdna3I14__hip_bfloat16Li4EEEvPKT_PS3_PKjS5_S8_PKfPKiSC_SC_iiiiiiiibi
    .private_segment_fixed_size: 80
    .sgpr_count:     45
    .sgpr_spill_count: 0
    .symbol:         _ZN4vllm14moe_gptq_rdna324moe_gemm_q4_kernel_rdna3I14__hip_bfloat16Li4EEEvPKT_PS3_PKjS5_S8_PKfPKiSC_SC_iiiiiiiibi.kd
    .uniform_work_group_size: 1
    .uses_dynamic_stack: false
    .vgpr_count:     54
    .vgpr_spill_count: 0
    .wavefront_size: 32
    .workgroup_processor_mode: 1
  - .args:
      - .actual_access:  read_only
        .address_space:  global
        .offset:         0
        .size:           8
        .value_kind:     global_buffer
      - .address_space:  global
        .offset:         8
        .size:           8
        .value_kind:     global_buffer
      - .actual_access:  read_only
        .address_space:  global
        .offset:         16
        .size:           8
        .value_kind:     global_buffer
      - .actual_access:  read_only
        .address_space:  global
        .offset:         24
        .size:           8
        .value_kind:     global_buffer
      - .actual_access:  read_only
        .address_space:  global
        .offset:         32
        .size:           8
        .value_kind:     global_buffer
      - .actual_access:  read_only
        .address_space:  global
        .offset:         40
        .size:           8
        .value_kind:     global_buffer
      - .actual_access:  read_only
        .address_space:  global
        .offset:         48
        .size:           8
        .value_kind:     global_buffer
      - .actual_access:  read_only
        .address_space:  global
        .offset:         56
        .size:           8
        .value_kind:     global_buffer
      - .actual_access:  read_only
        .address_space:  global
        .offset:         64
        .size:           8
        .value_kind:     global_buffer
      - .offset:         72
        .size:           4
        .value_kind:     by_value
      - .offset:         76
        .size:           4
        .value_kind:     by_value
      - .offset:         80
        .size:           4
        .value_kind:     by_value
      - .offset:         84
        .size:           4
        .value_kind:     by_value
      - .offset:         88
        .size:           4
        .value_kind:     by_value
      - .offset:         92
        .size:           4
        .value_kind:     by_value
      - .offset:         96
        .size:           4
        .value_kind:     by_value
      - .offset:         100
        .size:           4
        .value_kind:     by_value
      - .offset:         104
        .size:           1
        .value_kind:     by_value
      - .offset:         108
        .size:           4
        .value_kind:     by_value
    .group_segment_fixed_size: 20608
    .kernarg_segment_align: 8
    .kernarg_segment_size: 112
    .language:       OpenCL C
    .language_version:
      - 2
      - 0
    .max_flat_workgroup_size: 1024
    .name:           _ZN4vllm14moe_gptq_rdna324moe_gemm_q4_kernel_rdna3I14__hip_bfloat16Li8EEEvPKT_PS3_PKjS5_S8_PKfPKiSC_SC_iiiiiiiibi
    .private_segment_fixed_size: 144
    .sgpr_count:     45
    .sgpr_spill_count: 0
    .symbol:         _ZN4vllm14moe_gptq_rdna324moe_gemm_q4_kernel_rdna3I14__hip_bfloat16Li8EEEvPKT_PS3_PKjS5_S8_PKfPKiSC_SC_iiiiiiiibi.kd
    .uniform_work_group_size: 1
    .uses_dynamic_stack: false
    .vgpr_count:     82
    .vgpr_spill_count: 0
    .wavefront_size: 32
    .workgroup_processor_mode: 1
amdhsa.target:   amdgcn-amd-amdhsa--gfx1100
amdhsa.version:
  - 1
  - 2
...

	.end_amdgpu_metadata
